;; amdgpu-corpus repo=ROCm/rocFFT kind=compiled arch=gfx1201 opt=O3
	.text
	.amdgcn_target "amdgcn-amd-amdhsa--gfx1201"
	.amdhsa_code_object_version 6
	.protected	fft_rtc_back_len3456_factors_6_6_6_4_4_wgs_144_tpt_144_halfLds_half_op_CI_CI_unitstride_sbrr_dirReg ; -- Begin function fft_rtc_back_len3456_factors_6_6_6_4_4_wgs_144_tpt_144_halfLds_half_op_CI_CI_unitstride_sbrr_dirReg
	.globl	fft_rtc_back_len3456_factors_6_6_6_4_4_wgs_144_tpt_144_halfLds_half_op_CI_CI_unitstride_sbrr_dirReg
	.p2align	8
	.type	fft_rtc_back_len3456_factors_6_6_6_4_4_wgs_144_tpt_144_halfLds_half_op_CI_CI_unitstride_sbrr_dirReg,@function
fft_rtc_back_len3456_factors_6_6_6_4_4_wgs_144_tpt_144_halfLds_half_op_CI_CI_unitstride_sbrr_dirReg: ; @fft_rtc_back_len3456_factors_6_6_6_4_4_wgs_144_tpt_144_halfLds_half_op_CI_CI_unitstride_sbrr_dirReg
; %bb.0:
	s_clause 0x2
	s_load_b128 s[8:11], s[0:1], 0x0
	s_load_b128 s[4:7], s[0:1], 0x58
	;; [unrolled: 1-line block ×3, first 2 shown]
	v_mul_u32_u24_e32 v1, 0x1c8, v0
	v_mov_b32_e32 v3, 0
	s_delay_alu instid0(VALU_DEP_2) | instskip(NEXT) | instid1(VALU_DEP_1)
	v_lshrrev_b32_e32 v1, 16, v1
	v_add_nc_u32_e32 v5, ttmp9, v1
	v_mov_b32_e32 v1, 0
	v_mov_b32_e32 v2, 0
	;; [unrolled: 1-line block ×3, first 2 shown]
	s_wait_kmcnt 0x0
	v_cmp_lt_u64_e64 s2, s[10:11], 2
	s_delay_alu instid0(VALU_DEP_1)
	s_and_b32 vcc_lo, exec_lo, s2
	s_cbranch_vccnz .LBB0_8
; %bb.1:
	s_load_b64 s[2:3], s[0:1], 0x10
	v_mov_b32_e32 v1, 0
	v_mov_b32_e32 v2, 0
	s_add_nc_u64 s[16:17], s[14:15], 8
	s_add_nc_u64 s[18:19], s[12:13], 8
	s_mov_b64 s[20:21], 1
	s_delay_alu instid0(VALU_DEP_1)
	v_dual_mov_b32 v19, v2 :: v_dual_mov_b32 v18, v1
	s_wait_kmcnt 0x0
	s_add_nc_u64 s[22:23], s[2:3], 8
	s_mov_b32 s3, 0
.LBB0_2:                                ; =>This Inner Loop Header: Depth=1
	s_load_b64 s[24:25], s[22:23], 0x0
                                        ; implicit-def: $vgpr20_vgpr21
	s_mov_b32 s2, exec_lo
	s_wait_kmcnt 0x0
	v_or_b32_e32 v4, s25, v6
	s_delay_alu instid0(VALU_DEP_1)
	v_cmpx_ne_u64_e32 0, v[3:4]
	s_wait_alu 0xfffe
	s_xor_b32 s26, exec_lo, s2
	s_cbranch_execz .LBB0_4
; %bb.3:                                ;   in Loop: Header=BB0_2 Depth=1
	s_cvt_f32_u32 s2, s24
	s_cvt_f32_u32 s27, s25
	s_sub_nc_u64 s[30:31], 0, s[24:25]
	s_wait_alu 0xfffe
	s_delay_alu instid0(SALU_CYCLE_1) | instskip(SKIP_1) | instid1(SALU_CYCLE_2)
	s_fmamk_f32 s2, s27, 0x4f800000, s2
	s_wait_alu 0xfffe
	v_s_rcp_f32 s2, s2
	s_delay_alu instid0(TRANS32_DEP_1) | instskip(SKIP_1) | instid1(SALU_CYCLE_2)
	s_mul_f32 s2, s2, 0x5f7ffffc
	s_wait_alu 0xfffe
	s_mul_f32 s27, s2, 0x2f800000
	s_wait_alu 0xfffe
	s_delay_alu instid0(SALU_CYCLE_2) | instskip(SKIP_1) | instid1(SALU_CYCLE_2)
	s_trunc_f32 s27, s27
	s_wait_alu 0xfffe
	s_fmamk_f32 s2, s27, 0xcf800000, s2
	s_cvt_u32_f32 s29, s27
	s_wait_alu 0xfffe
	s_delay_alu instid0(SALU_CYCLE_1) | instskip(SKIP_1) | instid1(SALU_CYCLE_2)
	s_cvt_u32_f32 s28, s2
	s_wait_alu 0xfffe
	s_mul_u64 s[34:35], s[30:31], s[28:29]
	s_wait_alu 0xfffe
	s_mul_hi_u32 s37, s28, s35
	s_mul_i32 s36, s28, s35
	s_mul_hi_u32 s2, s28, s34
	s_mul_i32 s33, s29, s34
	s_wait_alu 0xfffe
	s_add_nc_u64 s[36:37], s[2:3], s[36:37]
	s_mul_hi_u32 s27, s29, s34
	s_mul_hi_u32 s38, s29, s35
	s_add_co_u32 s2, s36, s33
	s_wait_alu 0xfffe
	s_add_co_ci_u32 s2, s37, s27
	s_mul_i32 s34, s29, s35
	s_add_co_ci_u32 s35, s38, 0
	s_wait_alu 0xfffe
	s_add_nc_u64 s[34:35], s[2:3], s[34:35]
	s_wait_alu 0xfffe
	v_add_co_u32 v4, s2, s28, s34
	s_delay_alu instid0(VALU_DEP_1) | instskip(SKIP_1) | instid1(VALU_DEP_1)
	s_cmp_lg_u32 s2, 0
	s_add_co_ci_u32 s29, s29, s35
	v_readfirstlane_b32 s28, v4
	s_wait_alu 0xfffe
	s_delay_alu instid0(VALU_DEP_1)
	s_mul_u64 s[30:31], s[30:31], s[28:29]
	s_wait_alu 0xfffe
	s_mul_hi_u32 s35, s28, s31
	s_mul_i32 s34, s28, s31
	s_mul_hi_u32 s2, s28, s30
	s_mul_i32 s33, s29, s30
	s_wait_alu 0xfffe
	s_add_nc_u64 s[34:35], s[2:3], s[34:35]
	s_mul_hi_u32 s27, s29, s30
	s_mul_hi_u32 s28, s29, s31
	s_wait_alu 0xfffe
	s_add_co_u32 s2, s34, s33
	s_add_co_ci_u32 s2, s35, s27
	s_mul_i32 s30, s29, s31
	s_add_co_ci_u32 s31, s28, 0
	s_wait_alu 0xfffe
	s_add_nc_u64 s[30:31], s[2:3], s[30:31]
	s_wait_alu 0xfffe
	v_add_co_u32 v4, s2, v4, s30
	s_delay_alu instid0(VALU_DEP_1) | instskip(SKIP_1) | instid1(VALU_DEP_1)
	s_cmp_lg_u32 s2, 0
	s_add_co_ci_u32 s2, s29, s31
	v_mul_hi_u32 v13, v5, v4
	s_wait_alu 0xfffe
	v_mad_co_u64_u32 v[7:8], null, v5, s2, 0
	v_mad_co_u64_u32 v[9:10], null, v6, v4, 0
	;; [unrolled: 1-line block ×3, first 2 shown]
	s_delay_alu instid0(VALU_DEP_3) | instskip(SKIP_1) | instid1(VALU_DEP_4)
	v_add_co_u32 v4, vcc_lo, v13, v7
	s_wait_alu 0xfffd
	v_add_co_ci_u32_e32 v7, vcc_lo, 0, v8, vcc_lo
	s_delay_alu instid0(VALU_DEP_2) | instskip(SKIP_1) | instid1(VALU_DEP_2)
	v_add_co_u32 v4, vcc_lo, v4, v9
	s_wait_alu 0xfffd
	v_add_co_ci_u32_e32 v4, vcc_lo, v7, v10, vcc_lo
	s_wait_alu 0xfffd
	v_add_co_ci_u32_e32 v7, vcc_lo, 0, v12, vcc_lo
	s_delay_alu instid0(VALU_DEP_2) | instskip(SKIP_1) | instid1(VALU_DEP_2)
	v_add_co_u32 v4, vcc_lo, v4, v11
	s_wait_alu 0xfffd
	v_add_co_ci_u32_e32 v9, vcc_lo, 0, v7, vcc_lo
	s_delay_alu instid0(VALU_DEP_2) | instskip(SKIP_1) | instid1(VALU_DEP_3)
	v_mul_lo_u32 v10, s25, v4
	v_mad_co_u64_u32 v[7:8], null, s24, v4, 0
	v_mul_lo_u32 v11, s24, v9
	s_delay_alu instid0(VALU_DEP_2) | instskip(NEXT) | instid1(VALU_DEP_2)
	v_sub_co_u32 v7, vcc_lo, v5, v7
	v_add3_u32 v8, v8, v11, v10
	s_delay_alu instid0(VALU_DEP_1) | instskip(SKIP_1) | instid1(VALU_DEP_1)
	v_sub_nc_u32_e32 v10, v6, v8
	s_wait_alu 0xfffd
	v_subrev_co_ci_u32_e64 v10, s2, s25, v10, vcc_lo
	v_add_co_u32 v11, s2, v4, 2
	s_wait_alu 0xf1ff
	v_add_co_ci_u32_e64 v12, s2, 0, v9, s2
	v_sub_co_u32 v13, s2, v7, s24
	v_sub_co_ci_u32_e32 v8, vcc_lo, v6, v8, vcc_lo
	s_wait_alu 0xf1ff
	v_subrev_co_ci_u32_e64 v10, s2, 0, v10, s2
	s_delay_alu instid0(VALU_DEP_3) | instskip(NEXT) | instid1(VALU_DEP_3)
	v_cmp_le_u32_e32 vcc_lo, s24, v13
	v_cmp_eq_u32_e64 s2, s25, v8
	s_wait_alu 0xfffd
	v_cndmask_b32_e64 v13, 0, -1, vcc_lo
	v_cmp_le_u32_e32 vcc_lo, s25, v10
	s_wait_alu 0xfffd
	v_cndmask_b32_e64 v14, 0, -1, vcc_lo
	v_cmp_le_u32_e32 vcc_lo, s24, v7
	;; [unrolled: 3-line block ×3, first 2 shown]
	s_wait_alu 0xfffd
	v_cndmask_b32_e64 v15, 0, -1, vcc_lo
	v_cmp_eq_u32_e32 vcc_lo, s25, v10
	s_wait_alu 0xf1ff
	s_delay_alu instid0(VALU_DEP_2)
	v_cndmask_b32_e64 v7, v15, v7, s2
	s_wait_alu 0xfffd
	v_cndmask_b32_e32 v10, v14, v13, vcc_lo
	v_add_co_u32 v13, vcc_lo, v4, 1
	s_wait_alu 0xfffd
	v_add_co_ci_u32_e32 v14, vcc_lo, 0, v9, vcc_lo
	s_delay_alu instid0(VALU_DEP_3) | instskip(SKIP_1) | instid1(VALU_DEP_2)
	v_cmp_ne_u32_e32 vcc_lo, 0, v10
	s_wait_alu 0xfffd
	v_cndmask_b32_e32 v8, v14, v12, vcc_lo
	v_cndmask_b32_e32 v10, v13, v11, vcc_lo
	v_cmp_ne_u32_e32 vcc_lo, 0, v7
	s_wait_alu 0xfffd
	s_delay_alu instid0(VALU_DEP_2)
	v_dual_cndmask_b32 v21, v9, v8 :: v_dual_cndmask_b32 v20, v4, v10
.LBB0_4:                                ;   in Loop: Header=BB0_2 Depth=1
	s_wait_alu 0xfffe
	s_and_not1_saveexec_b32 s2, s26
	s_cbranch_execz .LBB0_6
; %bb.5:                                ;   in Loop: Header=BB0_2 Depth=1
	v_cvt_f32_u32_e32 v4, s24
	s_sub_co_i32 s26, 0, s24
	v_mov_b32_e32 v21, v3
	s_delay_alu instid0(VALU_DEP_2) | instskip(NEXT) | instid1(TRANS32_DEP_1)
	v_rcp_iflag_f32_e32 v4, v4
	v_mul_f32_e32 v4, 0x4f7ffffe, v4
	s_delay_alu instid0(VALU_DEP_1) | instskip(SKIP_1) | instid1(VALU_DEP_1)
	v_cvt_u32_f32_e32 v4, v4
	s_wait_alu 0xfffe
	v_mul_lo_u32 v7, s26, v4
	s_delay_alu instid0(VALU_DEP_1) | instskip(NEXT) | instid1(VALU_DEP_1)
	v_mul_hi_u32 v7, v4, v7
	v_add_nc_u32_e32 v4, v4, v7
	s_delay_alu instid0(VALU_DEP_1) | instskip(NEXT) | instid1(VALU_DEP_1)
	v_mul_hi_u32 v4, v5, v4
	v_mul_lo_u32 v7, v4, s24
	v_add_nc_u32_e32 v8, 1, v4
	s_delay_alu instid0(VALU_DEP_2) | instskip(NEXT) | instid1(VALU_DEP_1)
	v_sub_nc_u32_e32 v7, v5, v7
	v_subrev_nc_u32_e32 v9, s24, v7
	v_cmp_le_u32_e32 vcc_lo, s24, v7
	s_wait_alu 0xfffd
	s_delay_alu instid0(VALU_DEP_2) | instskip(NEXT) | instid1(VALU_DEP_1)
	v_dual_cndmask_b32 v7, v7, v9 :: v_dual_cndmask_b32 v4, v4, v8
	v_cmp_le_u32_e32 vcc_lo, s24, v7
	s_delay_alu instid0(VALU_DEP_2) | instskip(SKIP_1) | instid1(VALU_DEP_1)
	v_add_nc_u32_e32 v8, 1, v4
	s_wait_alu 0xfffd
	v_cndmask_b32_e32 v20, v4, v8, vcc_lo
.LBB0_6:                                ;   in Loop: Header=BB0_2 Depth=1
	s_wait_alu 0xfffe
	s_or_b32 exec_lo, exec_lo, s2
	v_mul_lo_u32 v4, v21, s24
	s_delay_alu instid0(VALU_DEP_2)
	v_mul_lo_u32 v9, v20, s25
	s_load_b64 s[26:27], s[18:19], 0x0
	v_mad_co_u64_u32 v[7:8], null, v20, s24, 0
	s_load_b64 s[24:25], s[16:17], 0x0
	s_add_nc_u64 s[20:21], s[20:21], 1
	s_add_nc_u64 s[16:17], s[16:17], 8
	s_wait_alu 0xfffe
	v_cmp_ge_u64_e64 s2, s[20:21], s[10:11]
	s_add_nc_u64 s[18:19], s[18:19], 8
	s_add_nc_u64 s[22:23], s[22:23], 8
	v_add3_u32 v4, v8, v9, v4
	v_sub_co_u32 v5, vcc_lo, v5, v7
	s_wait_alu 0xfffd
	s_delay_alu instid0(VALU_DEP_2) | instskip(SKIP_2) | instid1(VALU_DEP_1)
	v_sub_co_ci_u32_e32 v4, vcc_lo, v6, v4, vcc_lo
	s_and_b32 vcc_lo, exec_lo, s2
	s_wait_kmcnt 0x0
	v_mul_lo_u32 v6, s26, v4
	v_mul_lo_u32 v7, s27, v5
	v_mad_co_u64_u32 v[1:2], null, s26, v5, v[1:2]
	v_mul_lo_u32 v4, s24, v4
	v_mul_lo_u32 v8, s25, v5
	v_mad_co_u64_u32 v[18:19], null, s24, v5, v[18:19]
	s_delay_alu instid0(VALU_DEP_4) | instskip(NEXT) | instid1(VALU_DEP_2)
	v_add3_u32 v2, v7, v2, v6
	v_add3_u32 v19, v8, v19, v4
	s_wait_alu 0xfffe
	s_cbranch_vccnz .LBB0_9
; %bb.7:                                ;   in Loop: Header=BB0_2 Depth=1
	v_dual_mov_b32 v5, v20 :: v_dual_mov_b32 v6, v21
	s_branch .LBB0_2
.LBB0_8:
	v_dual_mov_b32 v19, v2 :: v_dual_mov_b32 v18, v1
	v_dual_mov_b32 v21, v6 :: v_dual_mov_b32 v20, v5
.LBB0_9:
	s_load_b64 s[0:1], s[0:1], 0x28
	v_mul_hi_u32 v56, 0x1c71c72, v0
	s_lshl_b64 s[10:11], s[10:11], 3
                                        ; implicit-def: $vgpr24
	s_wait_kmcnt 0x0
	v_cmp_gt_u64_e32 vcc_lo, s[0:1], v[20:21]
	v_cmp_le_u64_e64 s0, s[0:1], v[20:21]
	s_delay_alu instid0(VALU_DEP_1)
	s_and_saveexec_b32 s1, s0
	s_wait_alu 0xfffe
	s_xor_b32 s0, exec_lo, s1
; %bb.10:
	v_mul_u32_u24_e32 v1, 0x90, v56
                                        ; implicit-def: $vgpr56
	s_delay_alu instid0(VALU_DEP_1)
	v_sub_nc_u32_e32 v24, v0, v1
                                        ; implicit-def: $vgpr0
                                        ; implicit-def: $vgpr1_vgpr2
; %bb.11:
	s_wait_alu 0xfffe
	s_or_saveexec_b32 s1, s0
	s_add_nc_u64 s[2:3], s[14:15], s[10:11]
                                        ; implicit-def: $vgpr48
                                        ; implicit-def: $vgpr32
                                        ; implicit-def: $vgpr51
                                        ; implicit-def: $vgpr36
                                        ; implicit-def: $vgpr55
                                        ; implicit-def: $vgpr46
                                        ; implicit-def: $vgpr53
                                        ; implicit-def: $vgpr42
                                        ; implicit-def: $vgpr54
                                        ; implicit-def: $vgpr49
                                        ; implicit-def: $vgpr52
                                        ; implicit-def: $vgpr43
                                        ; implicit-def: $vgpr37
                                        ; implicit-def: $vgpr17
                                        ; implicit-def: $vgpr41
                                        ; implicit-def: $vgpr26
                                        ; implicit-def: $vgpr50
                                        ; implicit-def: $vgpr38
                                        ; implicit-def: $vgpr45
                                        ; implicit-def: $vgpr33
                                        ; implicit-def: $vgpr47
                                        ; implicit-def: $vgpr40
                                        ; implicit-def: $vgpr44
                                        ; implicit-def: $vgpr34
                                        ; implicit-def: $vgpr16
                                        ; implicit-def: $vgpr6
                                        ; implicit-def: $vgpr27
                                        ; implicit-def: $vgpr10
                                        ; implicit-def: $vgpr39
                                        ; implicit-def: $vgpr28
                                        ; implicit-def: $vgpr31
                                        ; implicit-def: $vgpr22
                                        ; implicit-def: $vgpr35
                                        ; implicit-def: $vgpr29
                                        ; implicit-def: $vgpr30
                                        ; implicit-def: $vgpr25
                                        ; implicit-def: $vgpr5
                                        ; implicit-def: $vgpr3
                                        ; implicit-def: $vgpr7
                                        ; implicit-def: $vgpr4
                                        ; implicit-def: $vgpr23
                                        ; implicit-def: $vgpr12
                                        ; implicit-def: $vgpr13
                                        ; implicit-def: $vgpr8
                                        ; implicit-def: $vgpr15
                                        ; implicit-def: $vgpr14
                                        ; implicit-def: $vgpr11
                                        ; implicit-def: $vgpr9
	s_wait_alu 0xfffe
	s_xor_b32 exec_lo, exec_lo, s1
	s_cbranch_execz .LBB0_13
; %bb.12:
	s_add_nc_u64 s[10:11], s[12:13], s[10:11]
	v_lshlrev_b64_e32 v[1:2], 2, v[1:2]
	s_load_b64 s[10:11], s[10:11], 0x0
	s_wait_kmcnt 0x0
	v_mul_lo_u32 v5, s11, v20
	v_mul_lo_u32 v6, s10, v21
	v_mad_co_u64_u32 v[3:4], null, s10, v20, 0
	s_delay_alu instid0(VALU_DEP_1) | instskip(SKIP_1) | instid1(VALU_DEP_2)
	v_add3_u32 v4, v4, v6, v5
	v_mul_u32_u24_e32 v5, 0x90, v56
	v_lshlrev_b64_e32 v[3:4], 2, v[3:4]
	s_delay_alu instid0(VALU_DEP_2) | instskip(NEXT) | instid1(VALU_DEP_2)
	v_sub_nc_u32_e32 v24, v0, v5
	v_add_co_u32 v0, s0, s4, v3
	s_wait_alu 0xf1ff
	s_delay_alu instid0(VALU_DEP_3) | instskip(NEXT) | instid1(VALU_DEP_3)
	v_add_co_ci_u32_e64 v3, s0, s5, v4, s0
	v_lshlrev_b32_e32 v4, 2, v24
	s_delay_alu instid0(VALU_DEP_3) | instskip(SKIP_1) | instid1(VALU_DEP_3)
	v_add_co_u32 v0, s0, v0, v1
	s_wait_alu 0xf1ff
	v_add_co_ci_u32_e64 v1, s0, v3, v2, s0
	s_delay_alu instid0(VALU_DEP_2) | instskip(SKIP_1) | instid1(VALU_DEP_2)
	v_add_co_u32 v0, s0, v0, v4
	s_wait_alu 0xf1ff
	v_add_co_ci_u32_e64 v1, s0, 0, v1, s0
	s_clause 0x17
	global_load_b32 v36, v[0:1], off offset:2304
	global_load_b32 v32, v[0:1], off
	global_load_b32 v46, v[0:1], off offset:4608
	global_load_b32 v42, v[0:1], off offset:6912
	;; [unrolled: 1-line block ×22, first 2 shown]
	s_wait_loadcnt 0x17
	v_lshrrev_b32_e32 v51, 16, v36
	s_wait_loadcnt 0x16
	v_lshrrev_b32_e32 v48, 16, v32
	;; [unrolled: 2-line block ×24, first 2 shown]
.LBB0_13:
	s_or_b32 exec_lo, exec_lo, s1
	v_add_f16_e32 v0, v46, v49
	v_add_f16_e32 v1, v32, v46
	v_sub_f16_e32 v2, v55, v54
	v_add_f16_e32 v56, v55, v54
	v_sub_f16_e32 v46, v46, v49
	v_fmac_f16_e32 v32, -0.5, v0
	v_add_f16_e32 v1, v1, v49
	v_add_f16_e32 v0, v48, v55
	v_fmac_f16_e32 v48, -0.5, v56
	v_add_f16_e32 v55, v42, v43
	v_fmamk_f16 v49, v2, 0xbaee, v32
	v_fmac_f16_e32 v32, 0x3aee, v2
	v_add_f16_e32 v2, v53, v52
	v_add_f16_e32 v56, v51, v53
	;; [unrolled: 1-line block ×3, first 2 shown]
	v_fmamk_f16 v54, v46, 0x3aee, v48
	v_sub_f16_e32 v53, v53, v52
	v_fmac_f16_e32 v51, -0.5, v2
	v_sub_f16_e32 v2, v42, v43
	v_add_f16_e32 v42, v36, v42
	v_fmac_f16_e32 v36, -0.5, v55
	v_fmac_f16_e32 v48, 0xbaee, v46
	v_add_f16_e32 v52, v56, v52
	v_fmamk_f16 v46, v2, 0x3aee, v51
	v_fmac_f16_e32 v51, 0xbaee, v2
	v_add_f16_e32 v2, v42, v43
	v_fmamk_f16 v42, v53, 0xbaee, v36
	v_fmac_f16_e32 v36, 0x3aee, v53
	v_mul_f16_e32 v43, 0xbaee, v46
	v_mul_f16_e32 v53, 0xbaee, v51
	v_mul_f16_e32 v51, -0.5, v51
	v_mul_f16_e32 v55, 0x3aee, v42
	v_add_f16_e32 v56, v0, v52
	v_fmac_f16_e32 v43, 0.5, v42
	v_fmac_f16_e32 v53, -0.5, v36
	v_add_f16_e32 v42, v1, v2
	v_fmac_f16_e32 v51, 0x3aee, v36
	v_sub_f16_e32 v1, v1, v2
	v_add_f16_e32 v36, v49, v43
	v_sub_f16_e32 v2, v49, v43
	v_sub_f16_e32 v43, v0, v52
	v_add_f16_e32 v0, v38, v40
	v_add_f16_e32 v52, v17, v38
	v_add_f16_e32 v58, v48, v51
	v_sub_f16_e32 v48, v48, v51
	v_add_f16_e32 v51, v50, v47
	v_fmac_f16_e32 v17, -0.5, v0
	v_sub_f16_e32 v0, v50, v47
	v_add_f16_e32 v52, v52, v40
	v_sub_f16_e32 v38, v38, v40
	v_fmac_f16_e32 v55, 0.5, v46
	v_add_f16_e32 v46, v32, v53
	v_fmamk_f16 v40, v0, 0xbaee, v17
	v_fmac_f16_e32 v17, 0x3aee, v0
	v_add_f16_e32 v0, v45, v44
	v_sub_f16_e32 v32, v32, v53
	v_add_f16_e32 v50, v37, v50
	v_fmac_f16_e32 v37, -0.5, v51
	v_add_f16_e32 v51, v33, v34
	v_add_f16_e32 v53, v41, v45
	v_fmac_f16_e32 v41, -0.5, v0
	v_sub_f16_e32 v0, v33, v34
	v_add_f16_e32 v47, v50, v47
	v_fmamk_f16 v50, v38, 0x3aee, v37
	v_add_f16_e32 v33, v26, v33
	v_fmac_f16_e32 v26, -0.5, v51
	v_sub_f16_e32 v45, v45, v44
	v_fmac_f16_e32 v37, 0xbaee, v38
	v_fmamk_f16 v38, v0, 0x3aee, v41
	v_fmac_f16_e32 v41, 0xbaee, v0
	v_add_f16_e32 v0, v33, v34
	v_fmamk_f16 v33, v45, 0xbaee, v26
	v_fmac_f16_e32 v26, 0x3aee, v45
	v_mul_f16_e32 v34, 0xbaee, v38
	v_mul_f16_e32 v45, 0xbaee, v41
	v_mul_f16_e32 v41, -0.5, v41
	v_mul_f16_e32 v51, 0x3aee, v33
	v_add_f16_e32 v57, v54, v55
	v_fmac_f16_e32 v34, 0.5, v33
	v_fmac_f16_e32 v45, -0.5, v26
	v_add_f16_e32 v33, v52, v0
	v_sub_f16_e32 v52, v52, v0
	v_add_f16_e32 v0, v28, v29
	v_fmac_f16_e32 v51, 0.5, v38
	v_fmac_f16_e32 v41, 0x3aee, v26
	v_add_f16_e32 v38, v17, v45
	v_sub_f16_e32 v17, v17, v45
	v_add_f16_e32 v45, v6, v28
	v_fmac_f16_e32 v6, -0.5, v0
	v_sub_f16_e32 v0, v39, v35
	v_sub_f16_e32 v49, v54, v55
	v_add_f16_e32 v44, v53, v44
	v_add_f16_e32 v55, v37, v41
	v_sub_f16_e32 v37, v37, v41
	v_add_f16_e32 v41, v39, v35
	v_add_f16_e32 v45, v45, v29
	v_sub_f16_e32 v28, v28, v29
	v_fmamk_f16 v29, v0, 0xbaee, v6
	v_fmac_f16_e32 v6, 0x3aee, v0
	v_add_f16_e32 v0, v31, v30
	v_add_f16_e32 v26, v40, v34
	;; [unrolled: 1-line block ×3, first 2 shown]
	v_sub_f16_e32 v34, v40, v34
	v_sub_f16_e32 v40, v47, v44
	v_add_f16_e32 v39, v16, v39
	v_fmac_f16_e32 v16, -0.5, v41
	v_add_f16_e32 v41, v22, v25
	v_add_f16_e32 v47, v27, v31
	v_fmac_f16_e32 v27, -0.5, v0
	v_sub_f16_e32 v0, v22, v25
	v_add_f16_e32 v35, v39, v35
	v_fmamk_f16 v39, v28, 0x3aee, v16
	v_add_f16_e32 v22, v10, v22
	v_fmac_f16_e32 v10, -0.5, v41
	v_sub_f16_e32 v31, v31, v30
	v_fmac_f16_e32 v16, 0xbaee, v28
	v_fmamk_f16 v28, v0, 0x3aee, v27
	v_fmac_f16_e32 v27, 0xbaee, v0
	v_add_f16_e32 v0, v22, v25
	v_fmamk_f16 v22, v31, 0xbaee, v10
	v_fmac_f16_e32 v10, 0x3aee, v31
	v_mul_f16_e32 v25, 0xbaee, v28
	v_mul_f16_e32 v31, 0xbaee, v27
	v_mul_f16_e32 v27, -0.5, v27
	v_mul_f16_e32 v41, 0x3aee, v22
	v_add_f16_e32 v54, v50, v51
	v_fmac_f16_e32 v25, 0.5, v22
	v_fmac_f16_e32 v31, -0.5, v10
	v_add_f16_e32 v22, v45, v0
	v_sub_f16_e32 v45, v45, v0
	v_add_f16_e32 v0, v12, v14
	v_fmac_f16_e32 v41, 0.5, v28
	v_fmac_f16_e32 v27, 0x3aee, v10
	v_add_f16_e32 v28, v6, v31
	v_sub_f16_e32 v6, v6, v31
	v_add_f16_e32 v31, v3, v12
	v_fmac_f16_e32 v3, -0.5, v0
	v_sub_f16_e32 v0, v23, v15
	v_sub_f16_e32 v44, v50, v51
	v_add_f16_e32 v30, v47, v30
	v_add_f16_e32 v51, v16, v27
	v_sub_f16_e32 v16, v16, v27
	v_add_f16_e32 v27, v23, v15
	v_add_f16_e32 v31, v31, v14
	v_sub_f16_e32 v12, v12, v14
	v_fmamk_f16 v14, v0, 0xbaee, v3
	v_fmac_f16_e32 v3, 0x3aee, v0
	v_add_f16_e32 v0, v13, v11
	v_add_f16_e32 v10, v29, v25
	;; [unrolled: 1-line block ×3, first 2 shown]
	v_sub_f16_e32 v25, v29, v25
	v_sub_f16_e32 v29, v35, v30
	v_add_f16_e32 v23, v5, v23
	v_fmac_f16_e32 v5, -0.5, v27
	v_add_f16_e32 v27, v8, v9
	v_add_f16_e32 v35, v7, v13
	v_fmac_f16_e32 v7, -0.5, v0
	v_sub_f16_e32 v0, v8, v9
	v_add_f16_e32 v15, v23, v15
	v_fmamk_f16 v23, v12, 0x3aee, v5
	v_add_f16_e32 v8, v4, v8
	v_fmac_f16_e32 v4, -0.5, v27
	v_sub_f16_e32 v13, v13, v11
	v_fmac_f16_e32 v5, 0xbaee, v12
	v_fmamk_f16 v12, v0, 0x3aee, v7
	v_fmac_f16_e32 v7, 0xbaee, v0
	v_add_f16_e32 v0, v8, v9
	v_fmamk_f16 v8, v13, 0xbaee, v4
	v_fmac_f16_e32 v4, 0x3aee, v13
	v_mul_f16_e32 v9, 0xbaee, v12
	v_mul_f16_e32 v13, 0xbaee, v7
	v_add_f16_e32 v11, v35, v11
	v_mul_f16_e32 v27, 0x3aee, v8
	v_mul_f16_e32 v7, -0.5, v7
	v_fmac_f16_e32 v9, 0.5, v8
	v_add_f16_e32 v8, v31, v0
	v_sub_f16_e32 v31, v31, v0
	v_mul_u32_u24_e32 v0, 6, v24
	v_fmac_f16_e32 v13, -0.5, v4
	v_fmac_f16_e32 v27, 0.5, v12
	v_add_f16_e32 v35, v15, v11
	v_sub_f16_e32 v11, v15, v11
	v_lshl_add_u32 v15, v0, 1, 0
	v_fmac_f16_e32 v7, 0x3aee, v4
	v_add_f16_e32 v4, v14, v9
	v_add_f16_e32 v12, v3, v13
	;; [unrolled: 1-line block ×3, first 2 shown]
	v_sub_f16_e32 v30, v39, v41
	v_add_f16_e32 v39, v23, v27
	v_sub_f16_e32 v9, v14, v9
	v_sub_f16_e32 v3, v3, v13
	v_sub_f16_e32 v14, v23, v27
	v_add_nc_u32_e32 v23, 0x6c0, v15
	v_pack_b32_f16 v13, v38, v52
	v_pack_b32_f16 v26, v33, v26
	v_add_nc_u32_e32 v27, 0xd80, v15
	v_pack_b32_f16 v28, v28, v45
	v_pack_b32_f16 v10, v22, v10
	;; [unrolled: 1-line block ×3, first 2 shown]
	v_add_nc_u32_e32 v32, 0x1440, v15
	v_pack_b32_f16 v12, v12, v31
	v_pack_b32_f16 v4, v8, v4
	s_load_b64 s[2:3], s[2:3], 0x0
	v_add_f16_e32 v41, v5, v7
	v_sub_f16_e32 v5, v5, v7
	v_pack_b32_f16 v1, v46, v1
	v_pack_b32_f16 v7, v42, v36
	ds_store_2addr_b32 v23, v26, v13 offset1:1
	ds_store_2addr_b32 v27, v10, v28 offset1:1
	;; [unrolled: 1-line block ×3, first 2 shown]
	v_and_b32_e32 v4, 0xff, v24
	v_pack_b32_f16 v8, v34, v17
	v_pack_b32_f16 v6, v25, v6
	;; [unrolled: 1-line block ×3, first 2 shown]
	ds_store_2addr_b32 v15, v7, v1 offset1:1
	ds_store_b32 v15, v2 offset:8
	ds_store_b32 v15, v8 offset:1736
	;; [unrolled: 1-line block ×4, first 2 shown]
	v_mul_lo_u16 v1, 0xab, v4
	v_add_nc_u32_e32 v0, 0x90, v24
	v_pack_b32_f16 v26, v51, v29
	v_mad_i32_i24 v25, v24, -10, v15
	v_pack_b32_f16 v10, v55, v40
	v_lshrrev_b16 v8, 10, v1
	v_pack_b32_f16 v12, v53, v54
	v_pack_b32_f16 v16, v30, v16
	v_pack_b32_f16 v30, v41, v11
	v_pack_b32_f16 v28, v47, v50
	v_mul_lo_u16 v3, v8, 6
	v_pack_b32_f16 v31, v35, v39
	global_wb scope:SCOPE_SE
	s_wait_dscnt 0x0
	s_wait_kmcnt 0x0
	s_barrier_signal -1
	s_barrier_wait -1
	v_sub_nc_u16 v29, v24, v3
	v_and_b32_e32 v3, 0xffff, v0
	global_inv scope:SCOPE_SE
	ds_load_u16 v22, v25
	ds_load_u16 v13, v25 offset:288
	ds_load_u16 v9, v25 offset:576
	;; [unrolled: 1-line block ×23, first 2 shown]
	v_and_b32_e32 v11, 0xff, v29
	v_mul_u32_u24_e32 v29, 0xaaab, v3
	global_wb scope:SCOPE_SE
	s_wait_dscnt 0x0
	s_barrier_signal -1
	s_barrier_wait -1
	global_inv scope:SCOPE_SE
	v_pack_b32_f16 v1, v58, v43
	v_pack_b32_f16 v2, v56, v57
	ds_store_2addr_b32 v23, v12, v10 offset1:1
	ds_store_2addr_b32 v27, v28, v26 offset1:1
	;; [unrolled: 1-line block ×3, first 2 shown]
	v_lshrrev_b32_e32 v10, 18, v29
	v_pack_b32_f16 v6, v49, v48
	v_pack_b32_f16 v17, v44, v37
	;; [unrolled: 1-line block ×3, first 2 shown]
	ds_store_2addr_b32 v15, v2, v1 offset1:1
	ds_store_b32 v15, v6 offset:8
	ds_store_b32 v15, v17 offset:1736
	;; [unrolled: 1-line block ×4, first 2 shown]
	v_mul_lo_u16 v2, v10, 6
	v_mul_u32_u24_e32 v12, 5, v11
	global_wb scope:SCOPE_SE
	s_wait_dscnt 0x0
	s_barrier_signal -1
	s_barrier_wait -1
	v_sub_nc_u16 v5, v0, v2
	v_add_nc_u32_e32 v2, 0x120, v24
	v_lshlrev_b32_e32 v1, 2, v12
	global_inv scope:SCOPE_SE
	v_and_b32_e32 v8, 0xffff, v8
	v_and_b32_e32 v12, 0xffff, v5
	;; [unrolled: 1-line block ×3, first 2 shown]
	s_clause 0x1
	global_load_b128 v[26:29], v1, s[8:9]
	global_load_b32 v43, v1, s[8:9] offset:16
	v_mul_u32_u24_e32 v8, 0x48, v8
	v_mul_u32_u24_e32 v1, 5, v12
	v_mul_u32_u24_e32 v6, 0xaaab, v5
	v_lshlrev_b32_e32 v11, 1, v11
	v_mul_u32_u24_e32 v10, 0x48, v10
	v_lshlrev_b32_e32 v12, 1, v12
	v_lshlrev_b32_e32 v15, 2, v1
	v_lshrrev_b32_e32 v14, 18, v6
	v_add_nc_u32_e32 v1, 0x1b0, v24
	v_mul_lo_u16 v4, v4, 57
	v_add3_u32 v10, 0, v10, v12
	s_clause 0x1
	global_load_b128 v[30:33], v15, s[8:9]
	global_load_b32 v44, v15, s[8:9] offset:16
	v_mul_lo_u16 v6, v14, 6
	v_lshrrev_b16 v4, 11, v4
	v_mul_u32_u24_e32 v3, 0xe38f, v3
	v_mul_u32_u24_e32 v5, 0xe38f, v5
	v_cmp_gt_u32_e64 s0, 0x48, v24
	v_sub_nc_u16 v16, v2, v6
	v_and_b32_e32 v6, 0xffff, v1
	v_lshrrev_b32_e32 v3, 21, v3
	v_lshrrev_b32_e32 v5, 21, v5
	s_delay_alu instid0(VALU_DEP_4) | instskip(NEXT) | instid1(VALU_DEP_4)
	v_and_b32_e32 v17, 0xffff, v16
	v_mul_u32_u24_e32 v16, 0xaaab, v6
	v_mul_u32_u24_e32 v6, 0xe38f, v6
	s_delay_alu instid0(VALU_DEP_3) | instskip(NEXT) | instid1(VALU_DEP_3)
	v_mul_u32_u24_e32 v23, 5, v17
	v_lshrrev_b32_e32 v15, 18, v16
	s_delay_alu instid0(VALU_DEP_3) | instskip(NEXT) | instid1(VALU_DEP_3)
	v_lshrrev_b32_e32 v6, 21, v6
	v_lshlrev_b32_e32 v23, 2, v23
	s_delay_alu instid0(VALU_DEP_3) | instskip(SKIP_4) | instid1(VALU_DEP_1)
	v_mul_lo_u16 v16, v15, 6
	s_clause 0x1
	global_load_b128 v[34:37], v23, s[8:9]
	global_load_b32 v47, v23, s[8:9] offset:16
	v_sub_nc_u16 v16, v1, v16
	v_and_b32_e32 v16, 0xffff, v16
	s_delay_alu instid0(VALU_DEP_1) | instskip(NEXT) | instid1(VALU_DEP_1)
	v_mul_u32_u24_e32 v38, 5, v16
	v_lshlrev_b32_e32 v23, 2, v38
	s_clause 0x1
	global_load_b128 v[38:41], v23, s[8:9]
	global_load_b32 v48, v23, s[8:9] offset:16
	ds_load_u16 v49, v25 offset:1152
	ds_load_u16 v50, v25
	ds_load_u16 v51, v25 offset:288
	ds_load_u16 v53, v25 offset:576
	;; [unrolled: 1-line block ×22, first 2 shown]
	global_wb scope:SCOPE_SE
	s_wait_loadcnt_dscnt 0x0
	s_barrier_signal -1
	s_barrier_wait -1
	global_inv scope:SCOPE_SE
	v_lshrrev_b32_e32 v88, 16, v26
	v_lshrrev_b32_e32 v90, 16, v27
	;; [unrolled: 1-line block ×5, first 2 shown]
	v_mul_f16_e32 v93, v49, v88
	v_mul_f16_e32 v88, v64, v88
	;; [unrolled: 1-line block ×4, first 2 shown]
	s_delay_alu instid0(VALU_DEP_4)
	v_fmac_f16_e32 v93, v64, v26
	v_mul_f16_e32 v64, v79, v91
	v_mul_f16_e32 v91, v68, v91
	v_fma_f16 v26, v49, v26, -v88
	v_mul_f16_e32 v49, v57, v92
	v_mul_f16_e32 v88, v52, v92
	v_fmac_f16_e32 v95, v42, v27
	v_mul_f16_e32 v42, v84, v94
	v_fma_f16 v27, v54, v27, -v90
	v_lshrrev_b32_e32 v54, 16, v30
	v_fmac_f16_e32 v64, v68, v28
	v_lshrrev_b32_e32 v68, 16, v31
	v_mul_f16_e32 v90, v73, v94
	v_fma_f16 v28, v79, v28, -v91
	v_lshrrev_b32_e32 v79, 16, v32
	v_fmac_f16_e32 v49, v52, v29
	v_lshrrev_b32_e32 v52, 16, v33
	v_fma_f16 v29, v57, v29, -v88
	v_fmac_f16_e32 v42, v73, v43
	v_mul_f16_e32 v57, v76, v54
	v_mul_f16_e32 v54, v63, v54
	;; [unrolled: 1-line block ×4, first 2 shown]
	v_fma_f16 v43, v84, v43, -v90
	v_fmac_f16_e32 v57, v63, v30
	v_fma_f16 v30, v76, v30, -v54
	v_fmac_f16_e32 v73, v45, v31
	v_mul_f16_e32 v45, v80, v79
	v_fma_f16 v31, v55, v31, -v68
	v_mul_f16_e32 v54, v67, v79
	v_lshrrev_b32_e32 v55, 16, v44
	v_mul_f16_e32 v63, v58, v52
	v_mul_f16_e32 v52, v59, v52
	v_fmac_f16_e32 v45, v67, v32
	v_fma_f16 v32, v80, v32, -v54
	v_mul_f16_e32 v54, v85, v55
	v_fmac_f16_e32 v63, v59, v33
	v_mul_f16_e32 v55, v72, v55
	v_fma_f16 v33, v58, v33, -v52
	v_lshrrev_b32_e32 v52, 16, v34
	v_lshrrev_b32_e32 v58, 16, v35
	v_fmac_f16_e32 v54, v72, v44
	v_fma_f16 v44, v85, v44, -v55
	v_lshrrev_b32_e32 v55, 16, v36
	v_mul_f16_e32 v59, v77, v52
	v_mul_f16_e32 v52, v61, v52
	;; [unrolled: 1-line block ×3, first 2 shown]
	v_lshrrev_b32_e32 v68, 16, v37
	v_mul_f16_e32 v58, v46, v58
	v_fmac_f16_e32 v59, v61, v34
	v_fma_f16 v34, v77, v34, -v52
	v_fmac_f16_e32 v67, v46, v35
	v_mul_f16_e32 v46, v81, v55
	v_fma_f16 v35, v56, v35, -v58
	v_mul_f16_e32 v52, v65, v55
	v_lshrrev_b32_e32 v55, 16, v47
	v_mul_f16_e32 v56, v75, v68
	v_mul_f16_e32 v58, v60, v68
	v_fmac_f16_e32 v46, v65, v36
	v_fma_f16 v36, v81, v36, -v52
	v_mul_f16_e32 v52, v86, v55
	v_fmac_f16_e32 v56, v60, v37
	v_mul_f16_e32 v55, v70, v55
	v_fma_f16 v37, v75, v37, -v58
	v_lshrrev_b32_e32 v58, 16, v38
	v_fmac_f16_e32 v52, v70, v47
	v_lshrrev_b32_e32 v60, 16, v39
	v_fma_f16 v47, v86, v47, -v55
	v_lshrrev_b32_e32 v55, 16, v40
	v_mul_f16_e32 v61, v78, v58
	v_mul_f16_e32 v58, v62, v58
	v_mul_f16_e32 v65, v83, v60
	v_lshrrev_b32_e32 v68, 16, v41
	v_mul_f16_e32 v60, v69, v60
	v_fmac_f16_e32 v61, v62, v38
	v_fma_f16 v38, v78, v38, -v58
	v_mul_f16_e32 v58, v82, v55
	v_fmac_f16_e32 v65, v69, v39
	v_fma_f16 v39, v83, v39, -v60
	v_mul_f16_e32 v55, v66, v55
	v_lshrrev_b32_e32 v60, 16, v48
	v_mul_f16_e32 v62, v89, v68
	v_fmac_f16_e32 v58, v66, v40
	v_mul_f16_e32 v66, v74, v68
	v_fma_f16 v40, v82, v40, -v55
	v_mul_f16_e32 v55, v87, v60
	v_fmac_f16_e32 v62, v74, v41
	v_mul_f16_e32 v60, v71, v60
	v_fma_f16 v41, v89, v41, -v66
	v_add_f16_e32 v66, v95, v49
	v_fmac_f16_e32 v55, v71, v48
	v_add_f16_e32 v68, v22, v95
	v_fma_f16 v48, v87, v48, -v60
	v_add_f16_e32 v60, v27, v29
	v_fmac_f16_e32 v22, -0.5, v66
	v_sub_f16_e32 v66, v27, v29
	v_add_f16_e32 v27, v50, v27
	v_add_f16_e32 v68, v68, v49
	v_fmac_f16_e32 v50, -0.5, v60
	v_sub_f16_e32 v49, v95, v49
	v_fmamk_f16 v60, v66, 0xbaee, v22
	v_fmac_f16_e32 v22, 0x3aee, v66
	v_add_f16_e32 v66, v28, v43
	v_add_f16_e32 v69, v64, v42
	;; [unrolled: 1-line block ×4, first 2 shown]
	v_fmamk_f16 v29, v49, 0x3aee, v50
	v_fmac_f16_e32 v26, -0.5, v66
	v_sub_f16_e32 v66, v64, v42
	v_add_f16_e32 v64, v93, v64
	v_fmac_f16_e32 v93, -0.5, v69
	v_sub_f16_e32 v28, v28, v43
	v_fmac_f16_e32 v50, 0xbaee, v49
	v_fmamk_f16 v49, v66, 0x3aee, v26
	v_fmac_f16_e32 v26, 0xbaee, v66
	v_add_f16_e32 v42, v64, v42
	v_fmamk_f16 v64, v28, 0xbaee, v93
	v_fmac_f16_e32 v93, 0x3aee, v28
	v_mul_f16_e32 v28, 0xbaee, v49
	v_add_f16_e32 v43, v70, v43
	v_mul_f16_e32 v49, 0.5, v49
	v_mul_f16_e32 v66, 0xbaee, v26
	v_mul_f16_e32 v26, -0.5, v26
	v_fmac_f16_e32 v28, 0.5, v64
	v_add_f16_e32 v71, v27, v43
	v_fmac_f16_e32 v49, 0x3aee, v64
	v_sub_f16_e32 v27, v27, v43
	v_add_f16_e32 v43, v73, v63
	v_fmac_f16_e32 v26, 0x3aee, v93
	v_fmac_f16_e32 v66, -0.5, v93
	v_add_f16_e32 v72, v29, v49
	v_sub_f16_e32 v29, v29, v49
	v_add_f16_e32 v49, v13, v73
	v_fmac_f16_e32 v13, -0.5, v43
	v_sub_f16_e32 v43, v31, v33
	v_add_f16_e32 v64, v60, v28
	v_add_f16_e32 v74, v50, v26
	v_sub_f16_e32 v28, v60, v28
	v_sub_f16_e32 v26, v50, v26
	v_add_f16_e32 v50, v31, v33
	v_fmamk_f16 v60, v43, 0xbaee, v13
	v_fmac_f16_e32 v13, 0x3aee, v43
	v_add_f16_e32 v43, v32, v44
	v_add_f16_e32 v70, v22, v66
	v_sub_f16_e32 v22, v22, v66
	v_add_f16_e32 v49, v49, v63
	v_add_f16_e32 v31, v51, v31
	v_fmac_f16_e32 v51, -0.5, v50
	v_sub_f16_e32 v50, v73, v63
	v_add_f16_e32 v63, v45, v54
	v_add_f16_e32 v66, v30, v32
	v_fmac_f16_e32 v30, -0.5, v43
	v_sub_f16_e32 v43, v45, v54
	v_add_f16_e32 v31, v31, v33
	v_fmamk_f16 v33, v50, 0x3aee, v51
	v_add_f16_e32 v45, v57, v45
	v_fmac_f16_e32 v57, -0.5, v63
	v_sub_f16_e32 v32, v32, v44
	v_fmac_f16_e32 v51, 0xbaee, v50
	v_fmamk_f16 v50, v43, 0x3aee, v30
	v_fmac_f16_e32 v30, 0xbaee, v43
	v_add_f16_e32 v44, v66, v44
	v_add_f16_e32 v43, v45, v54
	v_fmamk_f16 v45, v32, 0xbaee, v57
	v_fmac_f16_e32 v57, 0x3aee, v32
	v_mul_f16_e32 v32, 0xbaee, v50
	v_mul_f16_e32 v54, 0xbaee, v30
	v_mul_f16_e32 v50, 0.5, v50
	v_mul_f16_e32 v30, -0.5, v30
	v_add_f16_e32 v66, v31, v44
	v_sub_f16_e32 v31, v31, v44
	v_add_f16_e32 v44, v67, v56
	v_add_f16_e32 v63, v49, v43
	v_fmac_f16_e32 v50, 0x3aee, v45
	v_fmac_f16_e32 v30, 0x3aee, v57
	v_sub_f16_e32 v43, v49, v43
	v_add_f16_e32 v49, v9, v67
	v_fmac_f16_e32 v9, -0.5, v44
	v_sub_f16_e32 v44, v35, v37
	v_add_f16_e32 v69, v68, v42
	v_sub_f16_e32 v42, v68, v42
	v_fmac_f16_e32 v54, -0.5, v57
	v_add_f16_e32 v68, v33, v50
	v_add_f16_e32 v73, v51, v30
	v_sub_f16_e32 v33, v33, v50
	v_sub_f16_e32 v30, v51, v30
	v_add_f16_e32 v50, v35, v37
	v_fmamk_f16 v51, v44, 0xbaee, v9
	v_fmac_f16_e32 v9, 0x3aee, v44
	v_add_f16_e32 v44, v36, v47
	v_add_f16_e32 v57, v13, v54
	v_sub_f16_e32 v13, v13, v54
	v_add_f16_e32 v49, v49, v56
	v_add_f16_e32 v35, v53, v35
	v_fmac_f16_e32 v53, -0.5, v50
	v_sub_f16_e32 v50, v67, v56
	v_add_f16_e32 v54, v46, v52
	v_add_f16_e32 v56, v34, v36
	v_fmac_f16_e32 v34, -0.5, v44
	v_sub_f16_e32 v44, v46, v52
	v_add_f16_e32 v35, v35, v37
	v_fmamk_f16 v37, v50, 0x3aee, v53
	v_add_f16_e32 v46, v59, v46
	v_fmac_f16_e32 v59, -0.5, v54
	v_sub_f16_e32 v36, v36, v47
	v_fmac_f16_e32 v53, 0xbaee, v50
	v_fmamk_f16 v50, v44, 0x3aee, v34
	v_fmac_f16_e32 v34, 0xbaee, v44
	v_add_f16_e32 v44, v46, v52
	v_fmamk_f16 v46, v36, 0xbaee, v59
	v_fmac_f16_e32 v59, 0x3aee, v36
	v_add_f16_e32 v47, v56, v47
	v_mul_f16_e32 v52, 0xbaee, v34
	v_mul_f16_e32 v34, -0.5, v34
	v_mul_f16_e32 v36, 0xbaee, v50
	v_mul_f16_e32 v50, 0.5, v50
	v_fmac_f16_e32 v32, 0.5, v45
	v_fmac_f16_e32 v52, -0.5, v59
	v_fmac_f16_e32 v34, 0x3aee, v59
	v_add_f16_e32 v59, v35, v47
	v_sub_f16_e32 v35, v35, v47
	v_add_f16_e32 v47, v65, v62
	v_fmac_f16_e32 v36, 0.5, v46
	v_add_f16_e32 v54, v49, v44
	v_fmac_f16_e32 v50, 0x3aee, v46
	v_sub_f16_e32 v44, v49, v44
	v_add_f16_e32 v49, v7, v65
	v_fmac_f16_e32 v7, -0.5, v47
	v_sub_f16_e32 v47, v39, v41
	v_add_f16_e32 v45, v60, v32
	v_sub_f16_e32 v32, v60, v32
	v_add_f16_e32 v46, v51, v36
	v_add_f16_e32 v60, v37, v50
	v_sub_f16_e32 v36, v51, v36
	v_sub_f16_e32 v37, v37, v50
	v_add_f16_e32 v50, v39, v41
	v_fmamk_f16 v51, v47, 0xbaee, v7
	v_fmac_f16_e32 v7, 0x3aee, v47
	v_add_f16_e32 v47, v40, v48
	v_add_f16_e32 v56, v9, v52
	;; [unrolled: 1-line block ×3, first 2 shown]
	v_sub_f16_e32 v9, v9, v52
	v_sub_f16_e32 v34, v53, v34
	v_add_f16_e32 v39, v23, v39
	v_fmac_f16_e32 v23, -0.5, v50
	v_sub_f16_e32 v50, v65, v62
	v_add_f16_e32 v52, v58, v55
	v_add_f16_e32 v53, v38, v40
	v_fmac_f16_e32 v38, -0.5, v47
	v_sub_f16_e32 v47, v58, v55
	v_add_f16_e32 v39, v39, v41
	v_fmamk_f16 v41, v50, 0x3aee, v23
	v_add_f16_e32 v58, v61, v58
	v_fmac_f16_e32 v61, -0.5, v52
	v_sub_f16_e32 v40, v40, v48
	v_fmac_f16_e32 v23, 0xbaee, v50
	v_fmamk_f16 v50, v47, 0x3aee, v38
	v_fmac_f16_e32 v38, 0xbaee, v47
	v_add_f16_e32 v47, v58, v55
	v_fmamk_f16 v52, v40, 0xbaee, v61
	v_fmac_f16_e32 v61, 0x3aee, v40
	v_mul_f16_e32 v40, 0xbaee, v50
	v_mul_f16_e32 v55, 0xbaee, v38
	v_mul_f16_e32 v38, -0.5, v38
	v_add_f16_e32 v49, v49, v62
	v_mul_f16_e32 v50, 0.5, v50
	v_fmac_f16_e32 v40, 0.5, v52
	v_fmac_f16_e32 v55, -0.5, v61
	v_fmac_f16_e32 v38, 0x3aee, v61
	v_add_f16_e32 v48, v53, v48
	v_add_f16_e32 v53, v49, v47
	v_fmac_f16_e32 v50, 0x3aee, v52
	v_add_f16_e32 v52, v51, v40
	v_add_f16_e32 v65, v23, v38
	v_sub_f16_e32 v23, v23, v38
	v_add3_u32 v38, 0, v8, v11
	v_mul_u32_u24_e32 v8, 0x48, v14
	v_lshlrev_b32_e32 v11, 1, v17
	v_add_f16_e32 v58, v7, v55
	v_sub_f16_e32 v47, v49, v47
	v_sub_f16_e32 v40, v51, v40
	;; [unrolled: 1-line block ×3, first 2 shown]
	v_add3_u32 v12, 0, v8, v11
	v_mul_u32_u24_e32 v8, 0x48, v15
	v_lshlrev_b32_e32 v11, 1, v16
	ds_store_b16 v38, v69
	ds_store_b16 v38, v64 offset:12
	ds_store_b16 v38, v70 offset:24
	;; [unrolled: 1-line block ×5, first 2 shown]
	ds_store_b16 v10, v63
	ds_store_b16 v10, v45 offset:12
	ds_store_b16 v10, v57 offset:24
	;; [unrolled: 1-line block ×5, first 2 shown]
	v_add_f16_e32 v61, v39, v48
	v_add_f16_e32 v62, v41, v50
	v_add3_u32 v13, 0, v8, v11
	ds_store_b16 v12, v54
	ds_store_b16 v12, v46 offset:12
	ds_store_b16 v12, v56 offset:24
	;; [unrolled: 1-line block ×5, first 2 shown]
	ds_store_b16 v13, v53
	ds_store_b16 v13, v52 offset:12
	ds_store_b16 v13, v58 offset:24
	;; [unrolled: 1-line block ×5, first 2 shown]
	v_mul_lo_u16 v9, v4, 36
	v_sub_f16_e32 v39, v39, v48
	v_sub_f16_e32 v41, v41, v50
	global_wb scope:SCOPE_SE
	s_wait_dscnt 0x0
	s_barrier_signal -1
	v_sub_nc_u16 v9, v24, v9
	s_barrier_wait -1
	global_inv scope:SCOPE_SE
	ds_load_u16 v17, v25
	ds_load_u16 v11, v25 offset:288
	ds_load_u16 v8, v25 offset:576
	;; [unrolled: 1-line block ×23, first 2 shown]
	v_and_b32_e32 v9, 0xff, v9
	global_wb scope:SCOPE_SE
	s_wait_dscnt 0x0
	s_barrier_signal -1
	s_barrier_wait -1
	global_inv scope:SCOPE_SE
	ds_store_b16 v38, v71
	ds_store_b16 v38, v72 offset:12
	ds_store_b16 v38, v74 offset:24
	;; [unrolled: 1-line block ×5, first 2 shown]
	ds_store_b16 v10, v66
	ds_store_b16 v10, v68 offset:12
	ds_store_b16 v10, v73 offset:24
	;; [unrolled: 1-line block ×5, first 2 shown]
	v_mul_u32_u24_e32 v10, 5, v9
	ds_store_b16 v12, v59
	ds_store_b16 v12, v60 offset:12
	ds_store_b16 v12, v67 offset:24
	;; [unrolled: 1-line block ×5, first 2 shown]
	ds_store_b16 v13, v61
	ds_store_b16 v13, v62 offset:12
	ds_store_b16 v13, v65 offset:24
	;; [unrolled: 1-line block ×5, first 2 shown]
	global_wb scope:SCOPE_SE
	s_wait_dscnt 0x0
	s_barrier_signal -1
	v_lshlrev_b32_e32 v12, 2, v10
	v_mul_lo_u16 v10, v3, 36
	s_barrier_wait -1
	global_inv scope:SCOPE_SE
	v_and_b32_e32 v4, 0xffff, v4
	s_clause 0x1
	global_load_b128 v[13:16], v12, s[8:9] offset:120
	global_load_b32 v38, v12, s[8:9] offset:136
	v_sub_nc_u16 v10, v0, v10
	v_lshlrev_b32_e32 v9, 1, v9
	v_mul_u32_u24_e32 v4, 0x1b0, v4
	v_mul_u32_u24_e32 v3, 0x1b0, v3
	s_delay_alu instid0(VALU_DEP_4) | instskip(NEXT) | instid1(VALU_DEP_3)
	v_and_b32_e32 v10, 0xffff, v10
	v_add3_u32 v4, 0, v4, v9
	s_delay_alu instid0(VALU_DEP_2) | instskip(SKIP_1) | instid1(VALU_DEP_2)
	v_mul_u32_u24_e32 v23, 5, v10
	v_lshlrev_b32_e32 v10, 1, v10
	v_lshlrev_b32_e32 v12, 2, v23
	v_mul_lo_u16 v23, v5, 36
	v_mul_u32_u24_e32 v5, 0x1b0, v5
	s_delay_alu instid0(VALU_DEP_4)
	v_add3_u32 v3, 0, v3, v10
	s_clause 0x1
	global_load_b128 v[26:29], v12, s[8:9] offset:120
	global_load_b32 v39, v12, s[8:9] offset:136
	v_sub_nc_u16 v2, v2, v23
	v_mul_lo_u16 v12, v6, 36
	s_delay_alu instid0(VALU_DEP_2) | instskip(NEXT) | instid1(VALU_DEP_2)
	v_and_b32_e32 v2, 0xffff, v2
	v_sub_nc_u16 v12, v1, v12
	s_delay_alu instid0(VALU_DEP_2) | instskip(NEXT) | instid1(VALU_DEP_2)
	v_mul_u32_u24_e32 v23, 5, v2
	v_and_b32_e32 v12, 0xffff, v12
	v_lshlrev_b32_e32 v2, 1, v2
	s_delay_alu instid0(VALU_DEP_3) | instskip(NEXT) | instid1(VALU_DEP_3)
	v_lshlrev_b32_e32 v23, 2, v23
	v_mul_u32_u24_e32 v34, 5, v12
	s_delay_alu instid0(VALU_DEP_3)
	v_add3_u32 v2, 0, v5, v2
	v_mul_u32_u24_e32 v5, 0x1b0, v6
	v_lshlrev_b32_e32 v6, 1, v12
	s_clause 0x1
	global_load_b128 v[30:33], v23, s[8:9] offset:120
	global_load_b32 v23, v23, s[8:9] offset:136
	v_lshlrev_b32_e32 v41, 2, v34
	s_clause 0x1
	global_load_b128 v[34:37], v41, s[8:9] offset:120
	global_load_b32 v41, v41, s[8:9] offset:136
	ds_load_u16 v59, v25 offset:1152
	ds_load_u16 v60, v25
	ds_load_u16 v61, v25 offset:288
	ds_load_u16 v62, v25 offset:576
	;; [unrolled: 1-line block ×22, first 2 shown]
	global_wb scope:SCOPE_SE
	s_wait_loadcnt_dscnt 0x0
	s_barrier_signal -1
	s_barrier_wait -1
	global_inv scope:SCOPE_SE
	v_add3_u32 v5, 0, v5, v6
	v_add_nc_u16 v12, v24, 0x240
	s_delay_alu instid0(VALU_DEP_1) | instskip(NEXT) | instid1(VALU_DEP_1)
	v_lshrrev_b16 v9, 3, v12
	v_and_b32_e32 v9, 0xffff, v9
	v_lshrrev_b32_e32 v79, 16, v13
	v_lshrrev_b32_e32 v84, 16, v14
	;; [unrolled: 1-line block ×3, first 2 shown]
	s_delay_alu instid0(VALU_DEP_3) | instskip(NEXT) | instid1(VALU_DEP_3)
	v_mul_f16_e32 v86, v59, v79
	v_mul_f16_e32 v88, v64, v84
	;; [unrolled: 1-line block ×4, first 2 shown]
	s_delay_alu instid0(VALU_DEP_4)
	v_fmac_f16_e32 v86, v49, v13
	v_lshrrev_b32_e32 v49, 16, v16
	v_fmac_f16_e32 v88, v22, v14
	v_mul_f16_e32 v22, v74, v87
	v_fma_f16 v14, v64, v14, -v84
	v_lshrrev_b32_e32 v64, 16, v38
	v_fma_f16 v13, v59, v13, -v79
	v_mul_f16_e32 v59, v53, v87
	v_mul_f16_e32 v79, v67, v49
	v_fmac_f16_e32 v22, v53, v15
	v_mul_f16_e32 v53, v83, v64
	v_mul_f16_e32 v49, v43, v49
	v_fma_f16 v15, v74, v15, -v59
	v_fmac_f16_e32 v79, v43, v16
	v_mul_f16_e32 v43, v58, v64
	v_fmac_f16_e32 v53, v58, v38
	v_lshrrev_b32_e32 v58, 16, v27
	v_fma_f16 v16, v67, v16, -v49
	v_lshrrev_b32_e32 v49, 16, v26
	v_fma_f16 v38, v83, v38, -v43
	v_lshrrev_b32_e32 v43, 16, v28
	v_mul_f16_e32 v64, v65, v58
	v_lshrrev_b32_e32 v67, 16, v29
	v_mul_f16_e32 v59, v70, v49
	v_mul_f16_e32 v49, v48, v49
	;; [unrolled: 1-line block ×3, first 2 shown]
	v_fmac_f16_e32 v64, v40, v27
	v_mul_f16_e32 v40, v75, v43
	v_fmac_f16_e32 v59, v48, v26
	v_fma_f16 v26, v70, v26, -v49
	v_mul_f16_e32 v43, v52, v43
	v_lshrrev_b32_e32 v48, 16, v39
	v_mul_f16_e32 v49, v68, v67
	v_fmac_f16_e32 v40, v52, v28
	v_mul_f16_e32 v52, v44, v67
	v_fma_f16 v28, v75, v28, -v43
	v_mul_f16_e32 v43, v82, v48
	v_fmac_f16_e32 v49, v44, v29
	v_mul_f16_e32 v44, v57, v48
	v_fma_f16 v29, v68, v29, -v52
	v_lshrrev_b32_e32 v48, 16, v30
	v_lshrrev_b32_e32 v52, 16, v31
	v_fma_f16 v27, v65, v27, -v58
	v_fmac_f16_e32 v43, v57, v39
	v_fma_f16 v39, v82, v39, -v44
	v_lshrrev_b32_e32 v44, 16, v32
	v_mul_f16_e32 v57, v71, v48
	v_mul_f16_e32 v48, v46, v48
	v_mul_f16_e32 v58, v66, v52
	v_lshrrev_b32_e32 v65, 16, v33
	v_mul_f16_e32 v52, v42, v52
	v_fmac_f16_e32 v57, v46, v30
	v_fma_f16 v30, v71, v30, -v48
	v_fmac_f16_e32 v58, v42, v31
	v_mul_f16_e32 v42, v76, v44
	v_mul_f16_e32 v44, v50, v44
	v_lshrrev_b32_e32 v46, 16, v23
	v_mul_f16_e32 v48, v69, v65
	v_fma_f16 v31, v66, v31, -v52
	v_fmac_f16_e32 v42, v50, v32
	v_mul_f16_e32 v50, v45, v65
	v_fma_f16 v32, v76, v32, -v44
	v_mul_f16_e32 v44, v80, v46
	v_fmac_f16_e32 v48, v45, v33
	v_mul_f16_e32 v45, v55, v46
	v_lshrrev_b32_e32 v46, 16, v34
	v_fma_f16 v33, v69, v33, -v50
	v_fmac_f16_e32 v44, v55, v23
	v_lshrrev_b32_e32 v50, 16, v35
	v_fma_f16 v23, v80, v23, -v45
	v_lshrrev_b32_e32 v45, 16, v36
	v_mul_f16_e32 v52, v72, v46
	v_mul_f16_e32 v46, v47, v46
	v_mul_f16_e32 v55, v78, v50
	v_lshrrev_b32_e32 v65, 16, v37
	v_mul_f16_e32 v50, v54, v50
	v_fmac_f16_e32 v52, v47, v34
	v_fma_f16 v34, v72, v34, -v46
	v_mul_f16_e32 v46, v77, v45
	v_fmac_f16_e32 v55, v54, v35
	v_fma_f16 v35, v78, v35, -v50
	v_mul_f16_e32 v45, v51, v45
	v_mul_f16_e32 v50, v85, v65
	v_fmac_f16_e32 v46, v51, v36
	v_mul_f16_e32 v51, v63, v65
	v_lshrrev_b32_e32 v47, 16, v41
	v_fma_f16 v36, v77, v36, -v45
	v_fmac_f16_e32 v50, v63, v37
	v_add_f16_e32 v54, v17, v88
	v_fma_f16 v37, v85, v37, -v51
	v_add_f16_e32 v51, v88, v79
	v_mul_f16_e32 v45, v81, v47
	v_mul_f16_e32 v47, v56, v47
	v_add_f16_e32 v63, v22, v53
	v_add_f16_e32 v65, v13, v15
	v_fmac_f16_e32 v17, -0.5, v51
	v_sub_f16_e32 v51, v14, v16
	v_fmac_f16_e32 v45, v56, v41
	v_fma_f16 v41, v81, v41, -v47
	v_add_f16_e32 v47, v14, v16
	v_add_f16_e32 v14, v60, v14
	v_fmamk_f16 v56, v51, 0xbaee, v17
	v_fmac_f16_e32 v17, 0x3aee, v51
	v_add_f16_e32 v51, v15, v38
	v_fmac_f16_e32 v60, -0.5, v47
	v_sub_f16_e32 v47, v88, v79
	v_add_f16_e32 v14, v14, v16
	v_sub_f16_e32 v15, v15, v38
	v_fmac_f16_e32 v13, -0.5, v51
	v_sub_f16_e32 v51, v22, v53
	v_fmamk_f16 v16, v47, 0x3aee, v60
	v_add_f16_e32 v22, v86, v22
	v_fmac_f16_e32 v86, -0.5, v63
	v_fmac_f16_e32 v60, 0xbaee, v47
	v_fmamk_f16 v47, v51, 0x3aee, v13
	v_fmac_f16_e32 v13, 0xbaee, v51
	v_add_f16_e32 v22, v22, v53
	v_fmamk_f16 v51, v15, 0xbaee, v86
	v_fmac_f16_e32 v86, 0x3aee, v15
	v_mul_f16_e32 v15, 0xbaee, v47
	v_mul_f16_e32 v53, 0xbaee, v13
	v_add_f16_e32 v38, v65, v38
	v_mul_f16_e32 v47, 0.5, v47
	v_add_f16_e32 v54, v54, v79
	v_fmac_f16_e32 v15, 0.5, v51
	v_fmac_f16_e32 v53, -0.5, v86
	v_add_f16_e32 v66, v14, v38
	v_fmac_f16_e32 v47, 0x3aee, v51
	v_sub_f16_e32 v14, v14, v38
	v_add_f16_e32 v38, v64, v49
	v_add_f16_e32 v65, v17, v53
	v_sub_f16_e32 v17, v17, v53
	v_add_f16_e32 v67, v16, v47
	v_sub_f16_e32 v16, v16, v47
	v_add_f16_e32 v47, v11, v64
	v_add_f16_e32 v53, v27, v29
	v_fmac_f16_e32 v11, -0.5, v38
	v_sub_f16_e32 v38, v27, v29
	v_add_f16_e32 v27, v61, v27
	v_add_f16_e32 v63, v54, v22
	v_fmac_f16_e32 v61, -0.5, v53
	v_add_f16_e32 v51, v56, v15
	v_fmamk_f16 v53, v38, 0xbaee, v11
	v_fmac_f16_e32 v11, 0x3aee, v38
	v_add_f16_e32 v38, v28, v39
	v_sub_f16_e32 v22, v54, v22
	v_sub_f16_e32 v15, v56, v15
	v_add_f16_e32 v47, v47, v49
	v_sub_f16_e32 v49, v64, v49
	v_add_f16_e32 v54, v40, v43
	v_add_f16_e32 v56, v26, v28
	v_fmac_f16_e32 v26, -0.5, v38
	v_sub_f16_e32 v38, v40, v43
	v_add_f16_e32 v27, v27, v29
	v_fmamk_f16 v29, v49, 0x3aee, v61
	v_add_f16_e32 v40, v59, v40
	v_fmac_f16_e32 v59, -0.5, v54
	v_sub_f16_e32 v28, v28, v39
	v_fmac_f16_e32 v61, 0xbaee, v49
	v_fmamk_f16 v49, v38, 0x3aee, v26
	v_fmac_f16_e32 v26, 0xbaee, v38
	v_add_f16_e32 v38, v40, v43
	v_fmamk_f16 v40, v28, 0xbaee, v59
	v_fmac_f16_e32 v59, 0x3aee, v28
	v_add_f16_e32 v39, v56, v39
	v_mul_f16_e32 v43, 0xbaee, v26
	v_mul_f16_e32 v26, -0.5, v26
	v_mul_f16_e32 v13, -0.5, v13
	v_mul_f16_e32 v28, 0xbaee, v49
	v_mul_f16_e32 v49, 0.5, v49
	v_fmac_f16_e32 v43, -0.5, v59
	v_fmac_f16_e32 v26, 0x3aee, v59
	v_add_f16_e32 v59, v27, v39
	v_sub_f16_e32 v27, v27, v39
	v_add_f16_e32 v39, v58, v48
	v_add_f16_e32 v54, v47, v38
	;; [unrolled: 1-line block ×3, first 2 shown]
	v_sub_f16_e32 v38, v47, v38
	v_sub_f16_e32 v11, v11, v43
	v_add_f16_e32 v43, v8, v58
	v_add_f16_e32 v47, v31, v33
	v_fmac_f16_e32 v8, -0.5, v39
	v_sub_f16_e32 v39, v31, v33
	v_fmac_f16_e32 v13, 0x3aee, v86
	v_fmac_f16_e32 v28, 0.5, v40
	v_fmac_f16_e32 v49, 0x3aee, v40
	v_add_f16_e32 v43, v43, v48
	v_add_f16_e32 v31, v62, v31
	v_fmac_f16_e32 v62, -0.5, v47
	v_sub_f16_e32 v47, v58, v48
	v_fmamk_f16 v48, v39, 0xbaee, v8
	v_fmac_f16_e32 v8, 0x3aee, v39
	v_add_f16_e32 v39, v32, v23
	v_add_f16_e32 v68, v60, v13
	v_sub_f16_e32 v13, v60, v13
	v_add_f16_e32 v40, v53, v28
	v_add_f16_e32 v60, v29, v49
	v_sub_f16_e32 v28, v53, v28
	v_sub_f16_e32 v29, v29, v49
	v_add_f16_e32 v49, v42, v44
	v_add_f16_e32 v53, v30, v32
	v_fmac_f16_e32 v30, -0.5, v39
	v_sub_f16_e32 v39, v42, v44
	v_add_f16_e32 v31, v31, v33
	v_fmamk_f16 v33, v47, 0x3aee, v62
	v_add_f16_e32 v42, v57, v42
	v_fmac_f16_e32 v57, -0.5, v49
	v_sub_f16_e32 v32, v32, v23
	v_fmac_f16_e32 v62, 0xbaee, v47
	v_fmamk_f16 v47, v39, 0x3aee, v30
	v_fmac_f16_e32 v30, 0xbaee, v39
	v_add_f16_e32 v39, v42, v44
	v_fmamk_f16 v42, v32, 0xbaee, v57
	v_fmac_f16_e32 v57, 0x3aee, v32
	v_add_f16_e32 v23, v53, v23
	v_mul_f16_e32 v44, 0xbaee, v30
	v_mul_f16_e32 v30, -0.5, v30
	v_mul_f16_e32 v32, 0xbaee, v47
	v_mul_f16_e32 v47, 0.5, v47
	v_add_f16_e32 v49, v43, v39
	v_fmac_f16_e32 v44, -0.5, v57
	v_fmac_f16_e32 v30, 0x3aee, v57
	v_add_f16_e32 v57, v31, v23
	v_sub_f16_e32 v23, v31, v23
	v_add_f16_e32 v31, v55, v50
	v_fmac_f16_e32 v47, 0x3aee, v42
	v_sub_f16_e32 v39, v43, v39
	v_add_f16_e32 v43, v7, v55
	v_fmac_f16_e32 v32, 0.5, v42
	v_fmac_f16_e32 v7, -0.5, v31
	v_sub_f16_e32 v31, v35, v37
	v_add_f16_e32 v53, v8, v44
	v_add_f16_e32 v58, v33, v47
	v_sub_f16_e32 v8, v8, v44
	v_sub_f16_e32 v33, v33, v47
	v_add_f16_e32 v44, v35, v37
	v_fmamk_f16 v47, v31, 0xbaee, v7
	v_fmac_f16_e32 v7, 0x3aee, v31
	v_add_f16_e32 v31, v36, v41
	v_add_f16_e32 v42, v48, v32
	v_sub_f16_e32 v32, v48, v32
	v_add_f16_e32 v43, v43, v50
	v_add_f16_e32 v35, v73, v35
	v_fmac_f16_e32 v73, -0.5, v44
	v_sub_f16_e32 v44, v55, v50
	v_add_f16_e32 v48, v46, v45
	v_add_f16_e32 v50, v34, v36
	v_fmac_f16_e32 v34, -0.5, v31
	v_sub_f16_e32 v31, v46, v45
	v_add_f16_e32 v35, v35, v37
	v_fmamk_f16 v37, v44, 0x3aee, v73
	v_add_f16_e32 v46, v52, v46
	v_fmac_f16_e32 v52, -0.5, v48
	v_sub_f16_e32 v36, v36, v41
	v_fmac_f16_e32 v73, 0xbaee, v44
	v_fmamk_f16 v44, v31, 0x3aee, v34
	v_fmac_f16_e32 v34, 0xbaee, v31
	v_add_f16_e32 v31, v46, v45
	v_fmamk_f16 v45, v36, 0xbaee, v52
	v_fmac_f16_e32 v52, 0x3aee, v36
	v_mul_f16_e32 v36, 0xbaee, v44
	v_mul_f16_e32 v46, 0xbaee, v34
	v_mul_f16_e32 v44, 0.5, v44
	v_mul_f16_e32 v34, -0.5, v34
	v_add_f16_e32 v41, v50, v41
	v_fmac_f16_e32 v36, 0.5, v45
	v_fmac_f16_e32 v46, -0.5, v52
	v_fmac_f16_e32 v44, 0x3aee, v45
	v_fmac_f16_e32 v34, 0x3aee, v52
	v_add_f16_e32 v48, v43, v31
	v_add_f16_e32 v45, v47, v36
	;; [unrolled: 1-line block ×3, first 2 shown]
	v_sub_f16_e32 v31, v43, v31
	v_sub_f16_e32 v36, v47, v36
	v_add_f16_e32 v64, v61, v26
	v_sub_f16_e32 v26, v61, v26
	v_add_f16_e32 v61, v62, v30
	;; [unrolled: 2-line block ×3, first 2 shown]
	v_add_f16_e32 v55, v37, v44
	v_add_f16_e32 v62, v73, v34
	v_sub_f16_e32 v7, v7, v46
	v_sub_f16_e32 v35, v35, v41
	v_sub_f16_e32 v37, v37, v44
	v_sub_f16_e32 v34, v73, v34
	ds_store_b16 v4, v63
	ds_store_b16 v4, v51 offset:72
	ds_store_b16 v4, v65 offset:144
	ds_store_b16 v4, v22 offset:216
	ds_store_b16 v4, v15 offset:288
	ds_store_b16 v4, v17 offset:360
	ds_store_b16 v3, v54
	ds_store_b16 v3, v40 offset:72
	ds_store_b16 v3, v56 offset:144
	ds_store_b16 v3, v38 offset:216
	ds_store_b16 v3, v28 offset:288
	ds_store_b16 v3, v11 offset:360
	;; [unrolled: 6-line block ×4, first 2 shown]
	global_wb scope:SCOPE_SE
	s_wait_dscnt 0x0
	s_barrier_signal -1
	s_barrier_wait -1
	global_inv scope:SCOPE_SE
	ds_load_u16 v31, v25 offset:2304
	ds_load_u16 v32, v25
	ds_load_u16 v38, v25 offset:288
	ds_load_u16 v39, v25 offset:576
	;; [unrolled: 1-line block ×11, first 2 shown]
	v_lshl_add_u32 v36, v24, 1, 0
	ds_load_u16 v49, v25 offset:5760
	ds_load_u16 v50, v25 offset:6048
	;; [unrolled: 1-line block ×11, first 2 shown]
	global_wb scope:SCOPE_SE
	s_wait_dscnt 0x0
	s_barrier_signal -1
	s_barrier_wait -1
	global_inv scope:SCOPE_SE
	ds_store_b16 v4, v66
	ds_store_b16 v4, v67 offset:72
	ds_store_b16 v4, v68 offset:144
	ds_store_b16 v4, v14 offset:216
	ds_store_b16 v4, v16 offset:288
	ds_store_b16 v4, v13 offset:360
	ds_store_b16 v3, v59
	ds_store_b16 v3, v60 offset:72
	ds_store_b16 v3, v64 offset:144
	ds_store_b16 v3, v27 offset:216
	ds_store_b16 v3, v29 offset:288
	ds_store_b16 v3, v26 offset:360
	;; [unrolled: 6-line block ×4, first 2 shown]
	v_dual_mov_b32 v23, 0 :: v_dual_add_nc_u32 v2, 0xffffffb8, v24
	v_mul_u32_u24_e32 v3, 3, v24
	global_wb scope:SCOPE_SE
	s_wait_dscnt 0x0
	s_barrier_signal -1
	s_wait_alu 0xf1ff
	v_cndmask_b32_e64 v29, v2, v0, s0
	v_lshrrev_b16 v0, 3, v1
	v_lshlrev_b32_e32 v2, 2, v3
	s_barrier_wait -1
	global_inv scope:SCOPE_SE
	v_mul_i32_i24_e32 v22, 3, v29
	v_and_b32_e32 v0, 0xffff, v0
	global_load_b96 v[3:5], v2, s[8:9] offset:840
	v_mul_u32_u24_e32 v13, 0x12f7, v9
	global_load_b96 v[9:11], v2, s[8:9] offset:1704
	v_lshlrev_b64_e32 v[6:7], 2, v[22:23]
	v_mul_u32_u24_e32 v0, 0x12f7, v0
	v_lshlrev_b32_e32 v29, 1, v29
	v_lshrrev_b32_e32 v22, 17, v13
	s_delay_alu instid0(VALU_DEP_3) | instskip(SKIP_3) | instid1(VALU_DEP_3)
	v_lshrrev_b32_e32 v0, 17, v0
	v_add_co_u32 v6, s0, s8, v6
	s_wait_alu 0xf1ff
	v_add_co_ci_u32_e64 v7, s0, s9, v7, s0
	v_mul_lo_u16 v0, 0xd8, v0
	v_mul_lo_u16 v15, 0xd8, v22
	v_cmp_lt_u32_e64 s0, 0x47, v24
	global_load_b96 v[6:8], v[6:7], off offset:840
	v_sub_nc_u16 v1, v1, v0
	v_add_nc_u32_e32 v0, 0x2d0, v24
	v_sub_nc_u16 v15, v12, v15
	s_delay_alu instid0(VALU_DEP_3) | instskip(NEXT) | instid1(VALU_DEP_3)
	v_and_b32_e32 v1, 0xffff, v1
	v_lshrrev_b16 v14, 3, v0
	s_delay_alu instid0(VALU_DEP_3) | instskip(NEXT) | instid1(VALU_DEP_3)
	v_and_b32_e32 v30, 0xffff, v15
	v_mul_u32_u24_e32 v13, 3, v1
	s_delay_alu instid0(VALU_DEP_3) | instskip(SKIP_1) | instid1(VALU_DEP_3)
	v_and_b32_e32 v14, 0xffff, v14
	v_lshl_add_u32 v1, v1, 1, 0
	v_lshlrev_b32_e32 v13, 2, v13
	s_delay_alu instid0(VALU_DEP_3) | instskip(SKIP_2) | instid1(VALU_DEP_1)
	v_mul_u32_u24_e32 v16, 0x12f7, v14
	global_load_b96 v[12:14], v13, s[8:9] offset:840
	v_lshrrev_b32_e32 v16, 17, v16
	v_mul_lo_u16 v15, 0xd8, v16
	v_mul_u32_u24_e32 v16, 3, v30
	s_delay_alu instid0(VALU_DEP_2) | instskip(NEXT) | instid1(VALU_DEP_2)
	v_sub_nc_u16 v15, v0, v15
	v_lshlrev_b32_e32 v16, 2, v16
	s_delay_alu instid0(VALU_DEP_2) | instskip(SKIP_2) | instid1(VALU_DEP_1)
	v_and_b32_e32 v33, 0xffff, v15
	global_load_b96 v[15:17], v16, s[8:9] offset:840
	v_mul_u32_u24_e32 v26, 3, v33
	v_lshlrev_b32_e32 v26, 2, v26
	global_load_b96 v[26:28], v26, s[8:9] offset:840
	ds_load_u16 v34, v25 offset:3456
	ds_load_u16 v35, v25 offset:5184
	;; [unrolled: 1-line block ×5, first 2 shown]
	ds_load_u16 v57, v25
	ds_load_u16 v58, v25 offset:288
	ds_load_u16 v59, v25 offset:576
	;; [unrolled: 1-line block ×18, first 2 shown]
	global_wb scope:SCOPE_SE
	s_wait_loadcnt_dscnt 0x0
	s_barrier_signal -1
	s_barrier_wait -1
	global_inv scope:SCOPE_SE
	v_lshrrev_b32_e32 v73, 16, v3
	v_lshrrev_b32_e32 v82, 16, v4
	;; [unrolled: 1-line block ×3, first 2 shown]
	s_delay_alu instid0(VALU_DEP_3) | instskip(SKIP_1) | instid1(VALU_DEP_2)
	v_mul_f16_e32 v81, v37, v73
	v_mul_f16_e32 v73, v42, v73
	v_fmac_f16_e32 v81, v42, v3
	v_mul_f16_e32 v42, v34, v82
	v_mul_f16_e32 v82, v54, v82
	s_delay_alu instid0(VALU_DEP_4) | instskip(SKIP_1) | instid1(VALU_DEP_4)
	v_fma_f16 v3, v37, v3, -v73
	v_mul_f16_e32 v37, v35, v84
	v_fmac_f16_e32 v42, v54, v4
	v_lshrrev_b32_e32 v73, 16, v6
	v_fma_f16 v4, v34, v4, -v82
	v_mul_f16_e32 v34, v70, v84
	v_fmac_f16_e32 v37, v70, v5
	v_lshrrev_b32_e32 v70, 16, v7
	v_mul_f16_e32 v54, v52, v73
	v_mul_f16_e32 v73, v41, v73
	v_fma_f16 v5, v35, v5, -v34
	v_lshrrev_b32_e32 v34, 16, v8
	v_mul_f16_e32 v35, v66, v70
	v_fmac_f16_e32 v54, v41, v6
	v_mul_f16_e32 v41, v53, v70
	v_lshrrev_b32_e32 v70, 16, v9
	v_fma_f16 v6, v52, v6, -v73
	v_mul_f16_e32 v52, v74, v34
	v_fmac_f16_e32 v35, v53, v7
	v_mul_f16_e32 v34, v69, v34
	v_fma_f16 v7, v66, v7, -v41
	v_mul_f16_e32 v41, v55, v70
	v_lshrrev_b32_e32 v53, 16, v10
	v_fmac_f16_e32 v52, v69, v8
	v_fma_f16 v8, v74, v8, -v34
	v_mul_f16_e32 v34, v31, v70
	v_lshrrev_b32_e32 v66, 16, v11
	v_fmac_f16_e32 v41, v31, v9
	v_mul_f16_e32 v31, v67, v53
	v_mul_f16_e32 v53, v46, v53
	v_fma_f16 v9, v55, v9, -v34
	v_mul_f16_e32 v34, v75, v66
	v_lshrrev_b32_e32 v55, 16, v12
	v_fmac_f16_e32 v31, v46, v10
	v_mul_f16_e32 v46, v49, v66
	v_fma_f16 v10, v67, v10, -v53
	v_fmac_f16_e32 v34, v49, v11
	v_mul_f16_e32 v49, v62, v55
	v_lshrrev_b32_e32 v53, 16, v13
	v_mul_f16_e32 v55, v44, v55
	v_fma_f16 v11, v75, v11, -v46
	v_lshrrev_b32_e32 v46, 16, v14
	v_fmac_f16_e32 v49, v44, v12
	v_mul_f16_e32 v44, v68, v53
	v_fma_f16 v12, v62, v12, -v55
	v_lshrrev_b32_e32 v62, 16, v15
	v_mul_f16_e32 v55, v76, v46
	v_mul_f16_e32 v53, v47, v53
	v_fmac_f16_e32 v44, v47, v13
	v_mul_f16_e32 v46, v50, v46
	v_mul_f16_e32 v47, v64, v62
	v_fmac_f16_e32 v55, v50, v14
	v_lshrrev_b32_e32 v50, 16, v16
	v_fma_f16 v13, v68, v13, -v53
	v_fma_f16 v14, v76, v14, -v46
	v_mul_f16_e32 v46, v45, v62
	v_lshrrev_b32_e32 v53, 16, v17
	v_fmac_f16_e32 v47, v45, v15
	v_mul_f16_e32 v45, v72, v50
	v_mul_f16_e32 v50, v48, v50
	v_fma_f16 v15, v64, v15, -v46
	v_mul_f16_e32 v46, v77, v53
	v_lshrrev_b32_e32 v62, 16, v26
	v_fmac_f16_e32 v45, v48, v16
	v_mul_f16_e32 v48, v51, v53
	v_fma_f16 v16, v72, v16, -v50
	v_fmac_f16_e32 v46, v51, v17
	v_mul_f16_e32 v50, v78, v62
	v_mul_f16_e32 v51, v56, v62
	v_fma_f16 v17, v77, v17, -v48
	v_lshrrev_b32_e32 v48, 16, v28
	v_lshrrev_b32_e32 v53, 16, v27
	v_sub_f16_e32 v4, v57, v4
	v_sub_f16_e32 v37, v81, v37
	;; [unrolled: 1-line block ×3, first 2 shown]
	v_mul_f16_e32 v62, v80, v48
	v_mul_f16_e32 v48, v65, v48
	v_sub_f16_e32 v7, v58, v7
	v_sub_f16_e32 v10, v59, v10
	v_sub_f16_e32 v34, v41, v34
	v_fmac_f16_e32 v62, v65, v28
	v_fma_f16 v28, v80, v28, -v48
	v_sub_f16_e32 v48, v54, v52
	v_sub_f16_e32 v13, v60, v13
	;; [unrolled: 1-line block ×3, first 2 shown]
	v_fmac_f16_e32 v50, v56, v26
	v_fma_f16 v26, v78, v26, -v51
	v_mul_f16_e32 v51, v83, v53
	v_sub_f16_e32 v5, v3, v5
	v_fma_f16 v56, v57, 2.0, -v4
	v_fma_f16 v57, v81, 2.0, -v37
	v_mul_f16_e32 v53, v71, v53
	v_sub_f16_e32 v52, v4, v37
	v_fma_f16 v37, v38, 2.0, -v35
	v_fma_f16 v38, v54, 2.0, -v48
	;; [unrolled: 1-line block ×4, first 2 shown]
	v_sub_f16_e32 v58, v7, v48
	v_sub_f16_e32 v44, v40, v44
	;; [unrolled: 1-line block ×4, first 2 shown]
	v_fma_f16 v34, v60, 2.0, -v13
	v_fma_f16 v12, v12, 2.0, -v14
	v_fmac_f16_e32 v51, v71, v27
	v_fma_f16 v3, v3, 2.0, -v5
	v_fma_f16 v27, v83, v27, -v53
	v_add_f16_e32 v14, v44, v14
	v_sub_f16_e32 v12, v34, v12
	v_fma_f16 v40, v40, 2.0, -v44
	v_sub_f16_e32 v3, v56, v3
	v_sub_f16_e32 v16, v61, v16
	;; [unrolled: 1-line block ×3, first 2 shown]
	v_fma_f16 v60, v34, 2.0, -v12
	v_fma_f16 v34, v44, 2.0, -v14
	v_sub_f16_e32 v44, v63, v51
	v_sub_f16_e32 v51, v50, v62
	v_sub_f16_e32 v28, v26, v28
	v_sub_f16_e32 v42, v32, v42
	v_fma_f16 v53, v56, 2.0, -v3
	v_fma_f16 v56, v59, 2.0, -v10
	;; [unrolled: 1-line block ×3, first 2 shown]
	v_sub_f16_e32 v46, v47, v46
	v_sub_f16_e32 v59, v13, v48
	v_fma_f16 v48, v61, 2.0, -v16
	v_fma_f16 v61, v63, 2.0, -v44
	;; [unrolled: 1-line block ×7, first 2 shown]
	v_sub_f16_e32 v64, v16, v46
	v_sub_f16_e32 v46, v61, v50
	;; [unrolled: 1-line block ×8, first 2 shown]
	v_add_f16_e32 v5, v42, v5
	v_sub_f16_e32 v38, v37, v38
	v_add_f16_e32 v26, v44, v28
	v_fma_f16 v28, v61, 2.0, -v46
	v_fma_f16 v61, v62, 2.0, -v65
	;; [unrolled: 1-line block ×3, first 2 shown]
	s_wait_alu 0xf1ff
	v_cndmask_b32_e64 v27, 0, 0x6c0, s0
	v_fma_f16 v32, v32, 2.0, -v57
	v_fma_f16 v6, v6, 2.0, -v8
	;; [unrolled: 1-line block ×3, first 2 shown]
	v_add_f16_e32 v8, v35, v8
	v_fma_f16 v43, v43, 2.0, -v45
	v_sub_f16_e32 v17, v15, v17
	v_fma_f16 v42, v42, 2.0, -v5
	v_sub_f16_e32 v11, v9, v11
	v_fma_f16 v37, v37, 2.0, -v38
	v_add3_u32 v66, 0, v27, v29
	v_sub_f16_e32 v41, v39, v41
	v_fma_f16 v35, v35, 2.0, -v8
	v_sub_f16_e32 v49, v40, v49
	v_fma_f16 v15, v15, 2.0, -v17
	v_sub_f16_e32 v47, v43, v47
	ds_store_b16 v25, v32
	ds_store_b16 v25, v42 offset:432
	ds_store_b16 v25, v57 offset:864
	ds_store_b16 v25, v5 offset:1296
	ds_store_b16 v66, v37
	ds_store_b16 v66, v35 offset:432
	ds_store_b16 v66, v38 offset:864
	;; [unrolled: 1-line block ×3, first 2 shown]
	v_mul_u32_u24_e32 v5, 0x6c0, v22
	v_lshlrev_b32_e32 v8, 1, v30
	v_fma_f16 v9, v9, 2.0, -v11
	v_add_f16_e32 v11, v31, v11
	v_add_f16_e32 v17, v45, v17
	v_fma_f16 v39, v39, 2.0, -v41
	v_fma_f16 v40, v40, 2.0, -v49
	v_sub_f16_e32 v15, v48, v15
	v_fma_f16 v43, v43, 2.0, -v47
	v_add3_u32 v5, 0, v5, v8
	v_fma_f16 v31, v31, 2.0, -v11
	v_fma_f16 v45, v45, 2.0, -v17
	;; [unrolled: 1-line block ×3, first 2 shown]
	v_lshl_add_u32 v8, v33, 1, 0
	v_fma_f16 v63, v48, 2.0, -v15
	ds_store_b16 v36, v39 offset:1872
	ds_store_b16 v36, v31 offset:2304
	;; [unrolled: 1-line block ×8, first 2 shown]
	ds_store_b16 v5, v43
	ds_store_b16 v5, v45 offset:432
	ds_store_b16 v5, v47 offset:864
	;; [unrolled: 1-line block ×7, first 2 shown]
	global_wb scope:SCOPE_SE
	s_wait_dscnt 0x0
	s_barrier_signal -1
	s_barrier_wait -1
	global_inv scope:SCOPE_SE
	ds_load_u16 v32, v25 offset:2304
	ds_load_u16 v41, v25
	ds_load_u16 v26, v25 offset:288
	ds_load_u16 v27, v25 offset:576
	;; [unrolled: 1-line block ×22, first 2 shown]
	v_sub_f16_e32 v6, v54, v6
	v_sub_f16_e32 v9, v56, v9
	v_fma_f16 v4, v4, 2.0, -v52
	v_fma_f16 v7, v7, 2.0, -v58
	v_fma_f16 v10, v10, 2.0, -v55
	v_fma_f16 v54, v54, 2.0, -v6
	v_fma_f16 v56, v56, 2.0, -v9
	v_fma_f16 v13, v13, 2.0, -v59
	v_fma_f16 v16, v16, 2.0, -v64
	global_wb scope:SCOPE_SE
	s_wait_dscnt 0x0
	s_barrier_signal -1
	s_barrier_wait -1
	global_inv scope:SCOPE_SE
	ds_store_b16 v25, v53
	ds_store_b16 v25, v4 offset:432
	ds_store_b16 v25, v3 offset:864
	;; [unrolled: 1-line block ×3, first 2 shown]
	ds_store_b16 v66, v54
	ds_store_b16 v66, v7 offset:432
	ds_store_b16 v66, v6 offset:864
	;; [unrolled: 1-line block ×11, first 2 shown]
	ds_store_b16 v5, v63
	ds_store_b16 v5, v16 offset:432
	ds_store_b16 v5, v15 offset:864
	;; [unrolled: 1-line block ×7, first 2 shown]
	global_wb scope:SCOPE_SE
	s_wait_dscnt 0x0
	s_barrier_signal -1
	s_barrier_wait -1
	global_inv scope:SCOPE_SE
	s_and_saveexec_b32 s0, vcc_lo
	s_cbranch_execz .LBB0_15
; %bb.14:
	v_add_co_u32 v1, s0, s8, v2
	s_wait_alu 0xf1fe
	v_add_co_ci_u32_e64 v2, null, s9, 0, s0
	v_mad_u32_u24 v22, v0, 3, 0xfffffe50
	v_dual_mov_b32 v72, v23 :: v_dual_add_nc_u32 v71, 0x90, v24
	global_load_b96 v[15:17], v[1:2], off offset:3432
	v_mul_u32_u24_e32 v1, 3, v0
	v_mul_lo_u32 v66, s2, v21
	v_lshrrev_b32_e32 v79, 5, v71
	v_dual_mov_b32 v74, v23 :: v_dual_add_nc_u32 v75, 0x120, v24
	s_delay_alu instid0(VALU_DEP_4) | instskip(SKIP_1) | instid1(VALU_DEP_3)
	v_dual_mov_b32 v70, v23 :: v_dual_lshlrev_b32 v1, 2, v1
	v_lshlrev_b64_e32 v[68:69], 2, v[18:19]
	v_lshrrev_b32_e32 v80, 5, v75
	v_lshrrev_b32_e32 v76, 5, v24
	global_load_b96 v[12:14], v1, s[8:9] offset:3432
	v_lshlrev_b64_e32 v[1:2], 2, v[22:23]
	v_mad_u32_u24 v22, v0, 3, 0xfffffca0
	v_add_nc_u32_e32 v77, 0x1b0, v24
	v_mul_hi_u32 v82, 0x97b425f, v76
	v_dual_mov_b32 v76, v23 :: v_dual_add_nc_u32 v97, 0x2d0, v24
	v_add_co_u32 v1, vcc_lo, s8, v1
	s_wait_alu 0xfffd
	v_add_co_ci_u32_e32 v2, vcc_lo, s9, v2, vcc_lo
	v_lshrrev_b32_e32 v81, 5, v77
	v_add_nc_u32_e32 v78, 0x240, v24
	global_load_b96 v[9:11], v[1:2], off offset:3432
	v_lshlrev_b64_e32 v[1:2], 2, v[22:23]
	v_mad_u32_u24 v22, v0, 3, 0xfffffaf0
	v_mul_hi_u32 v85, 0x97b425f, v81
	v_lshrrev_b32_e32 v83, 5, v78
	s_delay_alu instid0(VALU_DEP_4) | instskip(SKIP_2) | instid1(VALU_DEP_3)
	v_add_co_u32 v1, vcc_lo, s8, v1
	s_wait_alu 0xfffd
	v_add_co_ci_u32_e32 v2, vcc_lo, s9, v2, vcc_lo
	v_mul_hi_u32 v96, 0x97b425f, v83
	global_load_b96 v[6:8], v[1:2], off offset:3432
	v_lshlrev_b64_e32 v[1:2], 2, v[22:23]
	v_mad_u32_u24 v22, v0, 3, 0xfffff940
	s_delay_alu instid0(VALU_DEP_2) | instskip(SKIP_1) | instid1(VALU_DEP_3)
	v_add_co_u32 v1, vcc_lo, s8, v1
	s_wait_alu 0xfffd
	v_add_co_ci_u32_e32 v2, vcc_lo, s9, v2, vcc_lo
	global_load_b96 v[3:5], v[1:2], off offset:3432
	v_lshlrev_b64_e32 v[0:1], 2, v[22:23]
	v_mul_lo_u32 v22, s3, v20
	v_mad_co_u64_u32 v[20:21], null, s2, v20, 0
	s_delay_alu instid0(VALU_DEP_3) | instskip(SKIP_1) | instid1(VALU_DEP_4)
	v_add_co_u32 v0, vcc_lo, s8, v0
	s_wait_alu 0xfffd
	v_add_co_ci_u32_e32 v1, vcc_lo, s9, v1, vcc_lo
	s_delay_alu instid0(VALU_DEP_3)
	v_add3_u32 v21, v21, v66, v22
	v_mul_hi_u32 v22, 0x97b425f, v79
	v_mul_hi_u32 v66, 0x97b425f, v80
	global_load_b96 v[0:2], v[0:1], off offset:3432
	ds_load_u16 v57, v25 offset:4896
	ds_load_u16 v55, v25 offset:4608
	;; [unrolled: 1-line block ×23, first 2 shown]
	ds_load_u16 v95, v25
	v_mov_b32_e32 v25, v23
	v_lshlrev_b64_e32 v[20:21], 2, v[20:21]
	v_mul_u32_u24_e32 v80, 0x360, v22
	v_mul_u32_u24_e32 v79, 0x360, v82
	;; [unrolled: 1-line block ×4, first 2 shown]
	s_delay_alu instid0(VALU_DEP_4) | instskip(SKIP_3) | instid1(VALU_DEP_3)
	v_sub_nc_u32_e32 v71, v71, v80
	v_add_co_u32 v20, vcc_lo, s6, v20
	s_wait_alu 0xfffd
	v_add_co_ci_u32_e32 v21, vcc_lo, s7, v21, vcc_lo
	v_mad_u32_u24 v22, 0xd80, v22, v71
	s_delay_alu instid0(VALU_DEP_3)
	v_add_co_u32 v99, vcc_lo, v20, v68
	v_sub_nc_u32_e32 v24, v24, v79
	v_mul_u32_u24_e32 v79, 0x360, v96
	v_sub_nc_u32_e32 v75, v75, v81
	s_wait_alu 0xfffd
	v_add_co_ci_u32_e32 v100, vcc_lo, v21, v69, vcc_lo
	v_lshlrev_b64_e32 v[20:21], 2, v[22:23]
	v_add_nc_u32_e32 v69, 0x360, v22
	v_add_nc_u32_e32 v71, 0x6c0, v22
	v_dual_mov_b32 v73, v23 :: v_dual_add_nc_u32 v22, 0xa20, v22
	v_lshlrev_b32_e32 v24, 2, v24
	v_sub_nc_u32_e32 v98, v78, v79
	v_sub_nc_u32_e32 v86, v77, v82
	s_delay_alu instid0(VALU_DEP_4) | instskip(SKIP_4) | instid1(VALU_DEP_4)
	v_lshlrev_b64_e32 v[79:80], 2, v[22:23]
	v_mad_u32_u24 v22, 0xd80, v66, v75
	v_add_co_u32 v77, vcc_lo, v99, v24
	v_lshlrev_b64_e32 v[68:69], 2, v[69:70]
	v_lshlrev_b64_e32 v[70:71], 2, v[71:72]
	;; [unrolled: 1-line block ×3, first 2 shown]
	v_add_nc_u32_e32 v24, 0x360, v22
	v_add_nc_u32_e32 v72, 0x6c0, v22
	;; [unrolled: 1-line block ×3, first 2 shown]
	s_wait_alu 0xfffd
	v_add_co_ci_u32_e32 v78, vcc_lo, 0, v100, vcc_lo
	v_add_co_u32 v20, vcc_lo, v99, v20
	s_delay_alu instid0(VALU_DEP_3)
	v_lshlrev_b64_e32 v[83:84], 2, v[22:23]
	v_mad_u32_u24 v22, 0xd80, v85, v86
	v_lshlrev_b64_e32 v[85:86], 2, v[72:73]
	s_wait_alu 0xfffd
	v_add_co_ci_u32_e32 v21, vcc_lo, v100, v21, vcc_lo
	v_add_co_u32 v68, vcc_lo, v99, v68
	v_lshlrev_b64_e32 v[87:88], 2, v[22:23]
	v_add_nc_u32_e32 v73, 0x360, v22
	v_add_nc_u32_e32 v75, 0x6c0, v22
	;; [unrolled: 1-line block ×3, first 2 shown]
	s_wait_alu 0xfffd
	v_add_co_ci_u32_e32 v69, vcc_lo, v100, v69, vcc_lo
	v_lshlrev_b64_e32 v[72:73], 2, v[73:74]
	v_lshlrev_b64_e32 v[74:75], 2, v[75:76]
	;; [unrolled: 1-line block ×3, first 2 shown]
	v_add_co_u32 v70, vcc_lo, v99, v70
	s_wait_alu 0xfffd
	v_add_co_ci_u32_e32 v71, vcc_lo, v100, v71, vcc_lo
	v_add_co_u32 v79, vcc_lo, v99, v79
	v_lshlrev_b64_e32 v[24:25], 2, v[24:25]
	s_wait_alu 0xfffd
	v_add_co_ci_u32_e32 v80, vcc_lo, v100, v80, vcc_lo
	v_add_co_u32 v81, vcc_lo, v99, v81
	s_wait_alu 0xfffd
	v_add_co_ci_u32_e32 v82, vcc_lo, v100, v82, vcc_lo
	v_add_co_u32 v24, vcc_lo, v99, v24
	;; [unrolled: 3-line block ×7, first 2 shown]
	s_wait_alu 0xfffd
	v_add_co_ci_u32_e32 v75, vcc_lo, v100, v75, vcc_lo
	s_wait_loadcnt 0x5
	v_lshrrev_b32_e32 v22, 16, v16
	v_lshrrev_b32_e32 v66, 16, v15
	;; [unrolled: 1-line block ×3, first 2 shown]
	s_wait_dscnt 0x12
	s_delay_alu instid0(VALU_DEP_3) | instskip(NEXT) | instid1(VALU_DEP_3)
	v_mul_f16_e32 v101, v22, v59
	v_mul_f16_e32 v102, v45, v66
	;; [unrolled: 1-line block ×4, first 2 shown]
	s_wait_dscnt 0x5
	v_mul_f16_e32 v66, v94, v66
	v_mul_f16_e32 v76, v93, v76
	s_wait_loadcnt 0x4
	v_lshrrev_b32_e32 v104, 16, v13
	v_lshrrev_b32_e32 v105, 16, v12
	;; [unrolled: 1-line block ×3, first 2 shown]
	v_fmac_f16_e32 v101, v49, v16
	v_fma_f16 v49, v15, v94, -v102
	v_fma_f16 v93, v17, v93, -v103
	;; [unrolled: 1-line block ×3, first 2 shown]
	v_fmac_f16_e32 v66, v45, v15
	v_fmac_f16_e32 v76, v50, v17
	v_mul_f16_e32 v15, v104, v57
	v_mul_f16_e32 v17, v46, v105
	;; [unrolled: 1-line block ×6, first 2 shown]
	s_wait_loadcnt 0x3
	v_lshrrev_b32_e32 v94, 16, v10
	v_lshrrev_b32_e32 v102, 16, v9
	;; [unrolled: 1-line block ×3, first 2 shown]
	v_fmac_f16_e32 v15, v48, v13
	v_fma_f16 v17, v12, v58, -v17
	v_fma_f16 v22, v14, v91, -v22
	;; [unrolled: 1-line block ×3, first 2 shown]
	v_fmac_f16_e32 v50, v46, v12
	v_fmac_f16_e32 v59, v47, v14
	v_sub_f16_e32 v12, v41, v101
	v_sub_f16_e32 v14, v49, v93
	s_wait_dscnt 0x0
	v_sub_f16_e32 v16, v95, v16
	v_sub_f16_e32 v45, v66, v76
	v_mul_f16_e32 v46, v94, v55
	v_mul_f16_e32 v47, v42, v102
	;; [unrolled: 1-line block ×6, first 2 shown]
	s_wait_loadcnt 0x2
	v_lshrrev_b32_e32 v91, 16, v7
	v_lshrrev_b32_e32 v93, 16, v6
	;; [unrolled: 1-line block ×3, first 2 shown]
	v_sub_f16_e32 v15, v40, v15
	v_sub_f16_e32 v22, v17, v22
	;; [unrolled: 1-line block ×4, first 2 shown]
	v_add_f16_e32 v101, v12, v14
	v_fma_f16 v66, v66, 2.0, -v45
	v_sub_f16_e32 v45, v16, v45
	v_fma_f16 v41, v41, 2.0, -v12
	v_fma_f16 v95, v95, 2.0, -v16
	;; [unrolled: 1-line block ×3, first 2 shown]
	v_fmac_f16_e32 v46, v44, v10
	v_fma_f16 v44, v9, v56, -v47
	v_fma_f16 v47, v11, v92, -v48
	;; [unrolled: 1-line block ×3, first 2 shown]
	v_fmac_f16_e32 v58, v42, v9
	v_fmac_f16_e32 v76, v43, v11
	v_mul_f16_e32 v9, v91, v53
	v_mul_f16_e32 v11, v37, v93
	;; [unrolled: 1-line block ×6, first 2 shown]
	s_wait_loadcnt 0x1
	v_lshrrev_b32_e32 v55, 16, v4
	v_lshrrev_b32_e32 v56, 16, v3
	;; [unrolled: 1-line block ×3, first 2 shown]
	v_fma_f16 v12, v12, 2.0, -v101
	v_fma_f16 v16, v16, 2.0, -v45
	v_fma_f16 v17, v17, 2.0, -v22
	v_add_f16_e32 v91, v15, v22
	v_fma_f16 v22, v50, 2.0, -v59
	v_sub_f16_e32 v50, v13, v59
	v_fma_f16 v40, v40, 2.0, -v15
	v_fma_f16 v59, v62, 2.0, -v13
	v_sub_f16_e32 v62, v41, v66
	v_sub_f16_e32 v14, v95, v14
	v_fmac_f16_e32 v9, v39, v7
	v_fma_f16 v11, v6, v54, -v11
	v_fma_f16 v39, v8, v61, -v48
	;; [unrolled: 1-line block ×3, first 2 shown]
	v_fmac_f16_e32 v43, v37, v6
	v_fmac_f16_e32 v49, v38, v8
	v_mul_f16_e32 v6, v55, v52
	v_mul_f16_e32 v8, v32, v56
	;; [unrolled: 1-line block ×6, first 2 shown]
	v_sub_f16_e32 v46, v33, v46
	v_sub_f16_e32 v47, v44, v47
	;; [unrolled: 1-line block ×4, first 2 shown]
	s_wait_loadcnt 0x0
	v_lshrrev_b32_e32 v54, 16, v0
	v_lshrrev_b32_e32 v55, 16, v1
	v_lshrrev_b32_e32 v56, 16, v2
	v_pack_b32_f16 v12, v12, v16
	v_fma_f16 v16, v41, 2.0, -v62
	v_fma_f16 v41, v95, 2.0, -v14
	;; [unrolled: 1-line block ×3, first 2 shown]
	v_sub_f16_e32 v61, v40, v22
	v_fmac_f16_e32 v6, v35, v4
	v_fma_f16 v8, v3, v65, -v8
	v_fma_f16 v13, v5, v60, -v38
	;; [unrolled: 1-line block ×3, first 2 shown]
	v_fmac_f16_e32 v42, v32, v3
	v_fmac_f16_e32 v48, v34, v5
	v_fma_f16 v3, v44, 2.0, -v47
	v_add_f16_e32 v32, v46, v47
	v_fma_f16 v5, v58, 2.0, -v53
	v_fma_f16 v22, v33, 2.0, -v46
	;; [unrolled: 1-line block ×3, first 2 shown]
	v_sub_f16_e32 v9, v29, v9
	v_sub_f16_e32 v35, v11, v39
	;; [unrolled: 1-line block ×4, first 2 shown]
	v_mul_f16_e32 v38, v55, v51
	v_mul_f16_e32 v39, v28, v54
	;; [unrolled: 1-line block ×6, first 2 shown]
	v_pack_b32_f16 v45, v101, v45
	v_pack_b32_f16 v14, v62, v14
	;; [unrolled: 1-line block ×3, first 2 shown]
	s_clause 0x2
	global_store_b32 v[77:78], v12, off offset:3456
	global_store_b32 v[77:78], v45, off offset:10368
	;; [unrolled: 1-line block ×3, first 2 shown]
	v_sub_f16_e32 v41, v22, v5
	v_sub_f16_e32 v45, v33, v3
	v_fma_f16 v3, v11, 2.0, -v35
	v_add_f16_e32 v5, v9, v35
	v_fma_f16 v11, v43, 2.0, -v37
	v_sub_f16_e32 v35, v7, v37
	v_fma_f16 v37, v63, 2.0, -v7
	v_sub_f16_e32 v6, v27, v6
	v_sub_f16_e32 v13, v8, v13
	v_fmac_f16_e32 v38, v30, v1
	v_fma_f16 v19, v0, v19, -v39
	v_fma_f16 v30, v2, v36, -v44
	;; [unrolled: 1-line block ×3, first 2 shown]
	v_fmac_f16_e32 v49, v28, v0
	v_fmac_f16_e32 v52, v31, v2
	v_fma_f16 v29, v29, 2.0, -v9
	v_sub_f16_e32 v4, v18, v4
	v_sub_f16_e32 v43, v42, v48
	v_fma_f16 v0, v9, 2.0, -v5
	v_sub_f16_e32 v3, v37, v3
	v_add_f16_e32 v9, v6, v13
	v_fma_f16 v8, v8, 2.0, -v13
	v_sub_f16_e32 v13, v26, v38
	v_sub_f16_e32 v30, v19, v30
	v_sub_f16_e32 v1, v67, v1
	v_sub_f16_e32 v31, v49, v52
	global_store_b32 v[77:78], v16, off
	v_fma_f16 v16, v22, 2.0, -v41
	v_fma_f16 v28, v33, 2.0, -v45
	;; [unrolled: 1-line block ×3, first 2 shown]
	v_sub_f16_e32 v7, v29, v11
	v_sub_f16_e32 v11, v4, v43
	v_fma_f16 v22, v27, 2.0, -v6
	v_fma_f16 v27, v42, 2.0, -v43
	;; [unrolled: 1-line block ×3, first 2 shown]
	v_sub_f16_e32 v37, v1, v31
	v_fma_f16 v26, v26, 2.0, -v13
	v_fma_f16 v31, v49, 2.0, -v31
	v_fma_f16 v38, v67, 2.0, -v1
	v_fma_f16 v19, v19, 2.0, -v30
	v_fma_f16 v18, v18, 2.0, -v4
	v_add_f16_e32 v36, v13, v30
	v_fma_f16 v29, v29, 2.0, -v7
	v_fma_f16 v6, v6, 2.0, -v9
	;; [unrolled: 1-line block ×3, first 2 shown]
	v_sub_f16_e32 v27, v22, v27
	v_pack_b32_f16 v2, v0, v2
	v_pack_b32_f16 v3, v7, v3
	v_sub_f16_e32 v0, v26, v31
	v_sub_f16_e32 v7, v38, v19
	;; [unrolled: 1-line block ×3, first 2 shown]
	v_fma_f16 v13, v13, 2.0, -v36
	v_fma_f16 v1, v1, 2.0, -v37
	v_pack_b32_f16 v9, v9, v11
	v_fma_f16 v11, v22, 2.0, -v27
	v_pack_b32_f16 v4, v6, v4
	v_fma_f16 v6, v26, 2.0, -v0
	v_fma_f16 v22, v38, 2.0, -v7
	;; [unrolled: 1-line block ×3, first 2 shown]
	v_pack_b32_f16 v1, v13, v1
	v_pack_b32_f16 v19, v36, v37
	;; [unrolled: 1-line block ×6, first 2 shown]
	s_clause 0x7
	global_store_b32 v[68:69], v1, off
	global_store_b32 v[79:80], v19, off
	;; [unrolled: 1-line block ×8, first 2 shown]
	v_pack_b32_f16 v4, v5, v35
	v_lshrrev_b32_e32 v5, 5, v97
	v_pack_b32_f16 v13, v29, v33
	v_mad_u32_u24 v22, 0xd80, v96, v98
	v_add_co_u32 v0, vcc_lo, v99, v89
	s_delay_alu instid0(VALU_DEP_4)
	v_mul_hi_u32 v8, 0x97b425f, v5
	s_wait_alu 0xfffd
	v_add_co_ci_u32_e32 v1, vcc_lo, v100, v90, vcc_lo
	s_clause 0x3
	global_store_b32 v[87:88], v13, off
	global_store_b32 v[72:73], v2, off
	;; [unrolled: 1-line block ×4, first 2 shown]
	v_dual_mov_b32 v13, v23 :: v_dual_add_nc_u32 v2, 0x360, v22
	v_mov_b32_e32 v3, v23
	v_lshlrev_b64_e32 v[0:1], 2, v[22:23]
	v_mul_u32_u24_e32 v6, 0x360, v8
	v_add_nc_u32_e32 v4, 0x6c0, v22
	v_dual_mov_b32 v5, v23 :: v_dual_add_nc_u32 v22, 0xa20, v22
	v_sub_f16_e32 v34, v10, v53
	s_delay_alu instid0(VALU_DEP_4) | instskip(SKIP_1) | instid1(VALU_DEP_4)
	v_sub_nc_u32_e32 v9, v97, v6
	v_lshlrev_b64_e32 v[2:3], 2, v[2:3]
	v_lshlrev_b64_e32 v[6:7], 2, v[22:23]
	v_add_co_u32 v0, vcc_lo, v99, v0
	s_delay_alu instid0(VALU_DEP_4)
	v_mad_u32_u24 v22, 0xd80, v8, v9
	v_lshlrev_b64_e32 v[4:5], 2, v[4:5]
	v_fma_f16 v12, v46, 2.0, -v32
	v_fma_f16 v10, v10, 2.0, -v34
	s_wait_alu 0xfffd
	v_add_co_ci_u32_e32 v1, vcc_lo, v100, v1, vcc_lo
	v_add_co_u32 v2, vcc_lo, v99, v2
	v_dual_mov_b32 v9, v23 :: v_dual_add_nc_u32 v8, 0x360, v22
	v_sub_f16_e32 v17, v59, v17
	s_wait_alu 0xfffd
	v_add_co_ci_u32_e32 v3, vcc_lo, v100, v3, vcc_lo
	v_pack_b32_f16 v18, v12, v10
	v_add_co_u32 v4, vcc_lo, v99, v4
	v_lshlrev_b64_e32 v[10:11], 2, v[22:23]
	v_add_nc_u32_e32 v12, 0x6c0, v22
	s_wait_alu 0xfffd
	v_add_co_ci_u32_e32 v5, vcc_lo, v100, v5, vcc_lo
	v_add_co_u32 v6, vcc_lo, v99, v6
	v_lshlrev_b64_e32 v[8:9], 2, v[8:9]
	v_fma_f16 v15, v15, 2.0, -v91
	v_fma_f16 v14, v40, 2.0, -v61
	;; [unrolled: 1-line block ×3, first 2 shown]
	v_add_nc_u32_e32 v22, 0xa20, v22
	s_wait_alu 0xfffd
	v_add_co_ci_u32_e32 v7, vcc_lo, v100, v7, vcc_lo
	v_add_co_u32 v10, vcc_lo, v99, v10
	v_lshlrev_b64_e32 v[12:13], 2, v[12:13]
	s_wait_alu 0xfffd
	v_add_co_ci_u32_e32 v11, vcc_lo, v100, v11, vcc_lo
	v_pack_b32_f16 v21, v14, v40
	v_add_co_u32 v8, vcc_lo, v99, v8
	v_pack_b32_f16 v24, v15, v57
	v_lshlrev_b64_e32 v[14:15], 2, v[22:23]
	s_wait_alu 0xfffd
	v_add_co_ci_u32_e32 v9, vcc_lo, v100, v9, vcc_lo
	v_pack_b32_f16 v16, v16, v28
	v_add_co_u32 v12, vcc_lo, v99, v12
	v_pack_b32_f16 v19, v41, v45
	s_wait_alu 0xfffd
	v_add_co_ci_u32_e32 v13, vcc_lo, v100, v13, vcc_lo
	v_pack_b32_f16 v20, v32, v34
	v_add_co_u32 v14, vcc_lo, v99, v14
	v_pack_b32_f16 v17, v61, v17
	s_wait_alu 0xfffd
	v_add_co_ci_u32_e32 v15, vcc_lo, v100, v15, vcc_lo
	v_pack_b32_f16 v22, v91, v50
	s_clause 0x7
	global_store_b32 v[0:1], v16, off
	global_store_b32 v[2:3], v18, off
	global_store_b32 v[4:5], v19, off
	global_store_b32 v[6:7], v20, off
	global_store_b32 v[10:11], v21, off
	global_store_b32 v[8:9], v24, off
	global_store_b32 v[12:13], v17, off
	global_store_b32 v[14:15], v22, off
.LBB0_15:
	s_nop 0
	s_sendmsg sendmsg(MSG_DEALLOC_VGPRS)
	s_endpgm
	.section	.rodata,"a",@progbits
	.p2align	6, 0x0
	.amdhsa_kernel fft_rtc_back_len3456_factors_6_6_6_4_4_wgs_144_tpt_144_halfLds_half_op_CI_CI_unitstride_sbrr_dirReg
		.amdhsa_group_segment_fixed_size 0
		.amdhsa_private_segment_fixed_size 0
		.amdhsa_kernarg_size 104
		.amdhsa_user_sgpr_count 2
		.amdhsa_user_sgpr_dispatch_ptr 0
		.amdhsa_user_sgpr_queue_ptr 0
		.amdhsa_user_sgpr_kernarg_segment_ptr 1
		.amdhsa_user_sgpr_dispatch_id 0
		.amdhsa_user_sgpr_private_segment_size 0
		.amdhsa_wavefront_size32 1
		.amdhsa_uses_dynamic_stack 0
		.amdhsa_enable_private_segment 0
		.amdhsa_system_sgpr_workgroup_id_x 1
		.amdhsa_system_sgpr_workgroup_id_y 0
		.amdhsa_system_sgpr_workgroup_id_z 0
		.amdhsa_system_sgpr_workgroup_info 0
		.amdhsa_system_vgpr_workitem_id 0
		.amdhsa_next_free_vgpr 107
		.amdhsa_next_free_sgpr 39
		.amdhsa_reserve_vcc 1
		.amdhsa_float_round_mode_32 0
		.amdhsa_float_round_mode_16_64 0
		.amdhsa_float_denorm_mode_32 3
		.amdhsa_float_denorm_mode_16_64 3
		.amdhsa_fp16_overflow 0
		.amdhsa_workgroup_processor_mode 1
		.amdhsa_memory_ordered 1
		.amdhsa_forward_progress 0
		.amdhsa_round_robin_scheduling 0
		.amdhsa_exception_fp_ieee_invalid_op 0
		.amdhsa_exception_fp_denorm_src 0
		.amdhsa_exception_fp_ieee_div_zero 0
		.amdhsa_exception_fp_ieee_overflow 0
		.amdhsa_exception_fp_ieee_underflow 0
		.amdhsa_exception_fp_ieee_inexact 0
		.amdhsa_exception_int_div_zero 0
	.end_amdhsa_kernel
	.text
.Lfunc_end0:
	.size	fft_rtc_back_len3456_factors_6_6_6_4_4_wgs_144_tpt_144_halfLds_half_op_CI_CI_unitstride_sbrr_dirReg, .Lfunc_end0-fft_rtc_back_len3456_factors_6_6_6_4_4_wgs_144_tpt_144_halfLds_half_op_CI_CI_unitstride_sbrr_dirReg
                                        ; -- End function
	.section	.AMDGPU.csdata,"",@progbits
; Kernel info:
; codeLenInByte = 14540
; NumSgprs: 41
; NumVgprs: 107
; ScratchSize: 0
; MemoryBound: 0
; FloatMode: 240
; IeeeMode: 1
; LDSByteSize: 0 bytes/workgroup (compile time only)
; SGPRBlocks: 5
; VGPRBlocks: 13
; NumSGPRsForWavesPerEU: 41
; NumVGPRsForWavesPerEU: 107
; Occupancy: 12
; WaveLimiterHint : 1
; COMPUTE_PGM_RSRC2:SCRATCH_EN: 0
; COMPUTE_PGM_RSRC2:USER_SGPR: 2
; COMPUTE_PGM_RSRC2:TRAP_HANDLER: 0
; COMPUTE_PGM_RSRC2:TGID_X_EN: 1
; COMPUTE_PGM_RSRC2:TGID_Y_EN: 0
; COMPUTE_PGM_RSRC2:TGID_Z_EN: 0
; COMPUTE_PGM_RSRC2:TIDIG_COMP_CNT: 0
	.text
	.p2alignl 7, 3214868480
	.fill 96, 4, 3214868480
	.type	__hip_cuid_281381e3bf363b82,@object ; @__hip_cuid_281381e3bf363b82
	.section	.bss,"aw",@nobits
	.globl	__hip_cuid_281381e3bf363b82
__hip_cuid_281381e3bf363b82:
	.byte	0                               ; 0x0
	.size	__hip_cuid_281381e3bf363b82, 1

	.ident	"AMD clang version 19.0.0git (https://github.com/RadeonOpenCompute/llvm-project roc-6.4.0 25133 c7fe45cf4b819c5991fe208aaa96edf142730f1d)"
	.section	".note.GNU-stack","",@progbits
	.addrsig
	.addrsig_sym __hip_cuid_281381e3bf363b82
	.amdgpu_metadata
---
amdhsa.kernels:
  - .args:
      - .actual_access:  read_only
        .address_space:  global
        .offset:         0
        .size:           8
        .value_kind:     global_buffer
      - .offset:         8
        .size:           8
        .value_kind:     by_value
      - .actual_access:  read_only
        .address_space:  global
        .offset:         16
        .size:           8
        .value_kind:     global_buffer
      - .actual_access:  read_only
        .address_space:  global
        .offset:         24
        .size:           8
        .value_kind:     global_buffer
      - .actual_access:  read_only
        .address_space:  global
        .offset:         32
        .size:           8
        .value_kind:     global_buffer
      - .offset:         40
        .size:           8
        .value_kind:     by_value
      - .actual_access:  read_only
        .address_space:  global
        .offset:         48
        .size:           8
        .value_kind:     global_buffer
      - .actual_access:  read_only
        .address_space:  global
        .offset:         56
        .size:           8
        .value_kind:     global_buffer
      - .offset:         64
        .size:           4
        .value_kind:     by_value
      - .actual_access:  read_only
        .address_space:  global
        .offset:         72
        .size:           8
        .value_kind:     global_buffer
      - .actual_access:  read_only
        .address_space:  global
        .offset:         80
        .size:           8
        .value_kind:     global_buffer
      - .actual_access:  read_only
        .address_space:  global
        .offset:         88
        .size:           8
        .value_kind:     global_buffer
      - .actual_access:  write_only
        .address_space:  global
        .offset:         96
        .size:           8
        .value_kind:     global_buffer
    .group_segment_fixed_size: 0
    .kernarg_segment_align: 8
    .kernarg_segment_size: 104
    .language:       OpenCL C
    .language_version:
      - 2
      - 0
    .max_flat_workgroup_size: 144
    .name:           fft_rtc_back_len3456_factors_6_6_6_4_4_wgs_144_tpt_144_halfLds_half_op_CI_CI_unitstride_sbrr_dirReg
    .private_segment_fixed_size: 0
    .sgpr_count:     41
    .sgpr_spill_count: 0
    .symbol:         fft_rtc_back_len3456_factors_6_6_6_4_4_wgs_144_tpt_144_halfLds_half_op_CI_CI_unitstride_sbrr_dirReg.kd
    .uniform_work_group_size: 1
    .uses_dynamic_stack: false
    .vgpr_count:     107
    .vgpr_spill_count: 0
    .wavefront_size: 32
    .workgroup_processor_mode: 1
amdhsa.target:   amdgcn-amd-amdhsa--gfx1201
amdhsa.version:
  - 1
  - 2
...

	.end_amdgpu_metadata
